;; amdgpu-corpus repo=llvm/llvm-project kind=harvested arch=n/a opt=n/a
// NOTE: Assertions have been autogenerated by utils/update_mc_test_checks.py UTC_ARGS: --unique --version 5
// RUN: not llvm-mc -triple=amdgcn -mcpu=gfx1100 -mattr=+wavefrontsize32,+real-true16 -show-encoding %s | FileCheck --check-prefixes=GFX11,W32 %s
// RUN: not llvm-mc -triple=amdgcn -mcpu=gfx1100 -mattr=+wavefrontsize64,+real-true16 -show-encoding %s | FileCheck --check-prefixes=GFX11,W64 %s
// RUN: not llvm-mc -triple=amdgcn -mcpu=gfx1100 -mattr=+wavefrontsize32,+real-true16 -show-encoding %s | %extract-encodings | llvm-mc -triple=amdgcn -mcpu=gfx1100 -mattr=+wavefrontsize32,+real-true16 -disassemble -show-encoding | FileCheck --check-prefixes=GFX11,W32 %s
// RUN: not llvm-mc -triple=amdgcn -mcpu=gfx1100 -mattr=+wavefrontsize64,+real-true16 -show-encoding %s | %extract-encodings | llvm-mc -triple=amdgcn -mcpu=gfx1100 -mattr=+wavefrontsize64,+real-true16 -disassemble -show-encoding | FileCheck --check-prefixes=GFX11,W64 %s
// RUN: not llvm-mc -triple=amdgcn -mcpu=gfx1100 -mattr=+wavefrontsize32,+real-true16 -filetype=null %s 2>&1 | FileCheck --check-prefixes=W32-ERR --implicit-check-not=error: %s
// RUN: not llvm-mc -triple=amdgcn -mcpu=gfx1100 -mattr=+wavefrontsize64,+real-true16 -filetype=null %s 2>&1 | FileCheck --check-prefixes=W64-ERR --implicit-check-not=error: %s

//  INSTS=
//      v_add3_u32_e64_dpp <OPS-32-32-32-32-XMOD-XMULDIV-XCLAMP>
//      v_add_co_u32_e64_dpp <OPS-32-M64-32-32>
//      v_add_lshl_u32_e64_dpp <OPS-32-32-32-32-XMOD-XMULDIV-XCLAMP>
//      v_add_nc_i16_e64_dpp <OPS-16-16-16>
//      v_add_nc_i32_e64_dpp <OPS-32-32-32-XMOD-XMULDIV>
//      v_add_nc_u16_e64_dpp <OPS-16-16-16>
//      v_alignbit_b32_e64_dpp <OPS-32-32-32-16>
//      v_alignbyte_b32_e64_dpp <OPS-32-32-32-16>
//      v_and_b16_e64_dpp <OPS-16-16-16-XCLAMP>
//      v_and_or_b32_e64_dpp <OPS-32-32-32-32-XMOD-XMULDIV-XCLAMP>
//      v_ashrrev_i16_e64_dpp <OPS-16-16-16-XCLAMP>
//      v_bcnt_u32_b32_e64_dpp <OPS-32-32-32-XMOD-XMULDIV-XCLAMP>
//      v_bfe_i32_e64_dpp <OPS-32-32-32-32-XMOD-XMULDIV-XCLAMP>
//      v_bfe_u32_e64_dpp <OPS-32-32-32-32-XMOD-XMULDIV-XCLAMP>
//      v_bfi_b32_e64_dpp <OPS-32-32-32-32-XMOD-XMULDIV-XCLAMP>
//      v_bfm_b32_e64_dpp <OPS-32-32-32-XMOD-XMULDIV-XCLAMP>
//      v_cndmask_b16_e64_dpp <OPS-16-16-16-M64>
//      v_cubeid_f32_e64_dpp <OPS-32-32-32-32>
//      v_cubema_f32_e64_dpp <OPS-32-32-32-32>
//      v_cubesc_f32_e64_dpp <OPS-32-32-32-32>
//      v_cubetc_f32_e64_dpp <OPS-32-32-32-32>
//      v_cvt_pk_i16_f32_e64_dpp <OPS-32-32-32-XMULDIV-XCLAMP>
//      v_cvt_pk_i16_i32_e64_dpp <OPS-32-32-32-XMOD-XMULDIV-XCLAMP>
//      v_cvt_pk_norm_i16_f16_e64_dpp <OPS-32-16-16>
//      v_cvt_pk_norm_i16_f32_e64_dpp <OPS-32-32-32-XMULDIV-XCLAMP>
//      v_cvt_pk_norm_u16_f16_e64_dpp <OPS-32-16-16>
//      v_cvt_pk_norm_u16_f32_e64_dpp <OPS-32-32-32-XMULDIV-XCLAMP>
//      v_cvt_pk_u16_f32_e64_dpp <OPS-32-32-32-XMULDIV-XCLAMP>
//      v_cvt_pk_u16_u32_e64_dpp <OPS-32-32-32-XMOD-XMULDIV-XCLAMP>
//      v_cvt_pk_u8_f32_e64_dpp <OPS-32-32-32-32-XMULDIV-XCLAMP>
//      v_div_fixup_f16_e64_dpp <OPS-16-16-16-16-XMULDIV>
//      v_dot2_bf16_bf16_e64_dpp <OPS-16-32-32-16>
//      v_dot2_f16_f16_e64_dpp <OPS-16-32-32-16>
//      v_dot2_f32_bf16_e64_dpp v0, v1, v2, v3 <DPP> row_mask:0xf bank_mask:0xf
//      v_dot2_f32_bf16_e64_dpp v0, v1, v2, v3 quad_perm:[2,2,3,1] <ROWBANK>
//      v_fma_f16_e64_dpp <OPS-16-16-16-16-XMULDIV>
//      v_fma_f32_e64_dpp <OPS-32-32-32-32>
//      v_ldexp_f32_e64_dpp <OPS-32-32-32>
//      v_lerp_u8_e64_dpp <OPS-32-32-32-32-XMOD-XMULDIV-XCLAMP>
//      v_lshl_add_u32_e64_dpp <OPS-32-32-32-32-XMOD-XMULDIV-XCLAMP>
//      v_lshl_or_b32_e64_dpp <OPS-32-32-32-32-XMOD-XMULDIV-XCLAMP>
//      v_lshlrev_b16_e64_dpp <OPS-16-16-16-XCLAMP>
//      v_lshrrev_b16_e64_dpp <OPS-16-16-16-XCLAMP>
//      v_mad_i16_e64_dpp <OPS-16-16-16-16-XMOD-XMULDIV>
//      v_mad_i32_i16_e64_dpp <OPS-32-16-16-32>
//      v_mad_i32_i24_e64_dpp <OPS-32-32-32-32-XMOD-XMULDIV>
//      v_mad_u16_e64_dpp <OPS-16-16-16-16-XMOD-XMULDIV>
//      v_mad_u32_u16_e64_dpp <OPS-32-16-16-32>
//      v_mad_u32_u24_e64_dpp <OPS-32-32-32-32-XMOD-XMULDIV>
//      v_max3_f16_e64_dpp <OPS-16-16-16-16>
//      v_max3_f32_e64_dpp <OPS-32-32-32-32>
//      v_max3_i16_e64_dpp <OPS-16-16-16-16-XMOD-XMULDIV-XCLAMP>
//      v_max3_i32_e64_dpp <OPS-32-32-32-32-XMOD-XMULDIV-XCLAMP>
//      v_max3_u16_e64_dpp <OPS-16-16-16-16-XMOD-XMULDIV-XCLAMP>
//      v_max3_u32_e64_dpp <OPS-32-32-32-32-XMOD-XMULDIV-XCLAMP>
//      v_max_i16_e64_dpp <OPS-16-16-16-XCLAMP>
//      v_max_u16_e64_dpp <OPS-16-16-16-XCLAMP>
//      v_maxmin_f16_e64_dpp <OPS-16-16-16-16>
//      v_maxmin_f32_e64_dpp <OPS-32-32-32-32>
//      v_maxmin_i32_e64_dpp <OPS-32-32-32-32-XMOD-XMULDIV-XCLAMP>
//      v_maxmin_u32_e64_dpp <OPS-32-32-32-32-XMOD-XMULDIV-XCLAMP>
//      v_mbcnt_hi_u32_b32_e64_dpp <OPS-32-32-32-XMOD-XMULDIV-XCLAMP>
//      v_mbcnt_lo_u32_b32_e64_dpp <OPS-32-32-32-XMOD-XMULDIV-XCLAMP>
//      v_med3_f16_e64_dpp <OPS-16-16-16-16>
//      v_med3_f32_e64_dpp <OPS-32-32-32-32>
//      v_med3_i16_e64_dpp <OPS-16-16-16-16-XMOD-XMULDIV-XCLAMP>
//      v_med3_i32_e64_dpp <OPS-32-32-32-32-XMOD-XMULDIV-XCLAMP>
//      v_med3_u16_e64_dpp <OPS-16-16-16-16-XMOD-XMULDIV-XCLAMP>
//      v_med3_u32_e64_dpp <OPS-32-32-32-32-XMOD-XMULDIV-XCLAMP>
//      v_min3_f16_e64_dpp <OPS-16-16-16-16>
//      v_min3_f32_e64_dpp <OPS-32-32-32-32>
//      v_min3_i16_e64_dpp <OPS-16-16-16-16-XMOD-XMULDIV-XCLAMP>
//      v_min3_i32_e64_dpp <OPS-32-32-32-32-XMOD-XMULDIV-XCLAMP>
//      v_min3_u16_e64_dpp <OPS-16-16-16-16-XMOD-XMULDIV>
//      v_min3_u32_e64_dpp <OPS-32-32-32-32-XMOD-XMULDIV-XCLAMP>
//      v_min_i16_e64_dpp <OPS-16-16-16-XCLAMP>
//      v_min_u16_e64_dpp <OPS-16-16-16-XCLAMP>
//      v_minmax_f16_e64_dpp <OPS-16-16-16-16>
//      v_minmax_f32_e64_dpp <OPS-32-32-32-32>
//      v_minmax_i32_e64_dpp <OPS-32-32-32-32-XMOD-XMULDIV-XCLAMP>
//      v_minmax_u32_e64_dpp <OPS-32-32-32-32-XMOD-XMULDIV-XCLAMP>
//      v_msad_u8_e64_dpp <OPS-32-32-32-32-XMOD-XMULDIV>
//      v_mul_lo_u16_e64_dpp <OPS-16-16-16-XCLAMP>
//      v_mullit_f32_e64_dpp <OPS-32-32-32-32>
//      v_or3_b32_e64_dpp <OPS-32-32-32-32-XMOD-XMULDIV-XCLAMP>
//      v_or_b16_e64_dpp <OPS-16-16-16-XCLAMP>
//      v_pack_b32_f16_e64_dpp <OPS-32-16-16>
//      v_perm_b32_e64_dpp <OPS-32-32-32-32-XMOD-XMULDIV-XCLAMP>
//      v_sad_hi_u8_e64_dpp <OPS-32-32-32-32-XMOD-XMULDIV>
//      v_sad_u16_e64_dpp <OPS-32-32-32-32-XMOD-XMULDIV>
//      v_sad_u32_e64_dpp <OPS-32-32-32-32-XMOD-XMULDIV>
//      v_sad_u8_e64_dpp <OPS-32-32-32-32-XMOD-XMULDIV>
//      v_sub_co_u32_e64_dpp <OPS-32-M64-32-32>
//      v_sub_nc_i16_e64_dpp <OPS-16-16-16>
//      v_sub_nc_i32_e64_dpp <OPS-32-32-32-XMOD-XMULDIV>
//      v_sub_nc_u16_e64_dpp <OPS-16-16-16>
//      v_subrev_co_u32_e64_dpp <OPS-32-M64-32-32>
//      v_xad_u32_e64_dpp <OPS-32-32-32-32-XMOD-XMULDIV-XCLAMP>
//      v_xor3_b32_e64_dpp <OPS-32-32-32-32-XMOD-XMULDIV-XCLAMP>
//      v_xor_b16_e64_dpp <OPS-16-16-16-XCLAMP>
//
//  <SREG-M64>=
//      s6
//      s105
	;; [unrolled: 1-line block ×4, first 2 shown]
//      vcc_lo
//      vcc_hi
//      vcc
//      ttmp15
//      ttmp[14:15]
//      null
//
//  <SRC16-XMOD>=
//      -1
//      0.5
//      exec_hi
//      exec_lo
//      m0
//      null
//      s105
//      s3
//      src_scc
//      ttmp15
//      v255.h
//      v255.l
//      v3.h
//      v3.l
//      vcc_hi
//      vcc_lo
//
//  <SRC16-XIMM>=
//      -v7.l
//      |v7.l|
//      -|v7.l|
//
//  <SRC16>=
//      <SRC16-XMOD>
//      -|0.5|
//
//  <SRC32-XMOD>=
//      -1
//      0.5
//      exec_hi
//      exec_lo
//      m0
//      null
//      s105
//      s3
//      src_scc
//      ttmp15
//      v255
//      v3
//      vcc_hi
//      vcc_lo
//
//  <SRC32-XIMM>=
//      -v7
//      |v7|
//      -|v7|
//
//  <SRC32>=
//      <SRC32-XMOD>
//      -|0.5|
//
//  <BOUND-CTRL>=
//      bound_ctrl:0
//      bound_ctrl:1
//
//  <DPP>=
//      quad_perm:[0,1,2,3]
//      quad_perm:[3,2,1,0]
//      row_half_mirror
//      row_mirror
//      row_ror:1
//      row_ror:15
//      row_share:0
//      row_share:15
//      row_shl:1
//      row_shl:15
//      row_shr:1
//      row_shr:15
//      row_xmask:0
//      row_xmask:15
//
//  <FI>=
//      fi:0
//      fi:1
//
//  <MULDIV>=
//      div:2
//      mul:2
//      mul:4
//
//  <ROWBANK>=
//      row_mask:0x0 bank_mask:0x1
//      row_mask:0x3 bank_mask:0x0
	;; [unrolled: 1-line block ×3, first 2 shown]
//
//  <OPS-16-16-16-XCLAMP>=
//      v5.l, v1.l, v2.l quad_perm:[3,2,1,0]
//      v255.l, v255.l, v255.l quad_perm:[3,2,1,0]
//      v5.l, v1.h, v2.l op_sel:[1,0,0] quad_perm:[3,2,1,0]
//      v5.l, v1.l, v2.h op_sel:[0,1,0] quad_perm:[3,2,1,0]
//      v5.l, v1.l, v2.l quad_perm:[3,2,1,0] <BOUND-CTRL>
//      v5.l, v1.l, v2.l <DPP>
//      v5.l, v1.l, v2.l quad_perm:[3,2,1,0] <FI>
//      v5.l, v1.l, v2.l quad_perm:[3,2,1,0] <ROWBANK>
//
//  <OPS-16-16-16>=
//      <OPS-16-16-16-XCLAMP>
//      v5.l, v1.l, v2.l clamp quad_perm:[3,2,1,0]
//
//  <OPS-16-16-16-16>=
//      v5.l, v1.l, v2.l, v3.l quad_perm:[3,2,1,0]
//      v255.l, v255.l, v255.l, v255.l quad_perm:[3,2,1,0]
//      v5.l, <SRC16-XIMM>, v2.l, v3.l quad_perm:[3,2,1,0]
//      v5.l, v1.l, <SRC16-XIMM>, v3.l quad_perm:[3,2,1,0]
//      v5.l, v1.l, v2.l, <SRC16> quad_perm:[3,2,1,0]
//      v5.l, v1.h, v2.l, v3.l op_sel:[1,0,0,0] quad_perm:[3,2,1,0]
//      v5.l, v1.l, v2.h, v3.l op_sel:[0,1,0,0] quad_perm:[3,2,1,0]
//      v5.l, v1.l, v2.l, v3.h op_sel:[0,0,1,0] quad_perm:[3,2,1,0]
//      v5.l, v1.l, v2.l, v3.l quad_perm:[3,2,1,0] <BOUND-CTRL>
//      v5.l, v1.l, v2.l, v3.l <DPP>
//      v5.l, v1.l, v2.l, v3.l quad_perm:[3,2,1,0] <FI>
//      v5.l, v1.l, v2.l, v3.l <MULDIV> quad_perm:[3,2,1,0]
//      v5.l, v1.l, v2.l, v3.l quad_perm:[3,2,1,0] <ROWBANK>
//      v5.l, v1.l, v2.l, v3.l clamp quad_perm:[3,2,1,0]
//
//  <OPS-16-16-16-16-XMOD-XMULDIV-XCLAMP>=
//      v5.l, v1.l, v2.l, v3.l quad_perm:[3,2,1,0]
//      v255.l, v255.l, v255.l, v255.l quad_perm:[3,2,1,0]
//      v5.l, v1.l, v2.l, <SRC16-XMOD> quad_perm:[3,2,1,0]
//      v5.l, v1.h, v2.l, v3.l op_sel:[1,0,0,0] quad_perm:[3,2,1,0]
//      v5.l, v1.l, v2.h, v3.l op_sel:[0,1,0,0] quad_perm:[3,2,1,0]
//      v5.l, v1.l, v2.l, v3.h op_sel:[0,0,1,0] quad_perm:[3,2,1,0]
//      v5.l, v1.l, v2.l, v3.l quad_perm:[3,2,1,0] <BOUND-CTRL>
//      v5.l, v1.l, v2.l, v3.l <DPP>
//      v5.l, v1.l, v2.l, v3.l quad_perm:[3,2,1,0] <FI>
//      v5.l, v1.l, v2.l, v3.l quad_perm:[3,2,1,0] <ROWBANK>
//
//  <OPS-16-16-16-16-XMOD-XMULDIV>=
//      <OPS-16-16-16-16-XMOD-XMULDIV-XCLAMP>
//      v5.l, v1.l, v2.l, v3.l clamp quad_perm:[3,2,1,0]
//
//  <OPS-16-16-16-16-XMULDIV>=
//      v5.l, v1.l, v2.l, v3.l quad_perm:[3,2,1,0]
//      v255.l, v255.l, v255.l, v255.l quad_perm:[3,2,1,0]
//      v5.l, <SRC16-XIMM>, v2.l, v3.l quad_perm:[3,2,1,0]
//      v5.l, v1.l, <SRC16-XIMM>, v3.l quad_perm:[3,2,1,0]
//      v5.l, v1.l, v2.l, <SRC16> quad_perm:[3,2,1,0]
//      v5.l, v1.h, v2.l, v3.l op_sel:[1,0,0,0] quad_perm:[3,2,1,0]
//      v5.l, v1.l, v2.h, v3.l op_sel:[0,1,0,0] quad_perm:[3,2,1,0]
//      v5.l, v1.l, v2.l, v3.h op_sel:[0,0,1,0] quad_perm:[3,2,1,0]
//      v5.l, v1.l, v2.l, v3.l quad_perm:[3,2,1,0] <BOUND-CTRL>
//      v5.l, v1.l, v2.l, v3.l <DPP>
//      v5.l, v1.l, v2.l, v3.l quad_perm:[3,2,1,0] <FI>
//      v5.l, v1.l, v2.l, v3.l quad_perm:[3,2,1,0] <ROWBANK>
//      v5.l, v1.l, v2.l, v3.l clamp quad_perm:[3,2,1,0]
//
//  <OPS-16-16-16-M64>=
//      v5.l, v1.l, v2.l, s3 quad_perm:[3,2,1,0]
//      v255.l, v255.l, v255.l, null quad_perm:[3,2,1,0]
//      v5.l, <SRC16-XIMM>, v2.l, s3 quad_perm:[3,2,1,0]
//      v5.l, v1.l, <SRC16-XIMM>, s3 quad_perm:[3,2,1,0]
//      v5.l, v1.l, v2.l, <SREG-M64> quad_perm:[3,2,1,0]
//      v5.l, v1.l, v2.l, s3 quad_perm:[3,2,1,0] <BOUND-CTRL>
//      v5.l, v1.l, v2.l, s3 <DPP>
//      v5.l, v1.l, v2.l, s3 quad_perm:[3,2,1,0] <FI>
//      v5.l, v1.l, v2.l, s3 quad_perm:[3,2,1,0] <ROWBANK>
//
//  <OPS-16-32-32-16>=
//      v0.l, v1, v2, v3.l quad_perm:[0,1,2,3]
//      v255.l, v255, v255, v255.l quad_perm:[0,1,2,3]
//      v0.l, <SRC32-XIMM>, v2, v3.l quad_perm:[0,1,2,3]
//      v0.l, v1, <SRC32-XIMM>, v3.l quad_perm:[0,1,2,3]
//      v0.l, v1, v2, <SRC16> quad_perm:[0,1,2,3]
//      v0.l, v1, v2, v3.h op_sel:[0,0,1,0] quad_perm:[0,1,2,3]
//      v0.l, v1, v2, v3.l quad_perm:[0,1,2,3] <BOUND-CTRL>
//      v0.l, v1, v2, v3.l <DPP>
//      v0.l, v1, v2, v3.l quad_perm:[0,1,2,3] <FI>
//      v0.l, v1, v2, v3.l quad_perm:[0,1,2,3] <ROWBANK>
//
//  <OPS-32-16-16>=
//      v5, v1.l, v2.l quad_perm:[3,2,1,0]
//      v255, v255.l, v255.l quad_perm:[3,2,1,0]
//      v5, <SRC16-XIMM>, v2.l quad_perm:[3,2,1,0]
//      v5, v1.l, <SRC16-XIMM> quad_perm:[3,2,1,0]
//      v5, v1.h, v2.l op_sel:[1,0,0] quad_perm:[3,2,1,0]
//      v5, v1.l, v2.h op_sel:[0,1,0] quad_perm:[3,2,1,0]
//      v5, v1.l, v2.l quad_perm:[3,2,1,0] <BOUND-CTRL>
//      v5, v1.l, v2.l <DPP>
//      v5, v1.l, v2.l quad_perm:[3,2,1,0] <FI>
//      v5, v1.l, v2.l quad_perm:[3,2,1,0] <ROWBANK>
//      v5, v1.l, v2.l clamp quad_perm:[3,2,1,0]
//
//  <OPS-32-16-16-32>=
//      v5, v1.l, v2.l, v3 quad_perm:[3,2,1,0]
//      v255, v255.l, v255.l, v255 quad_perm:[3,2,1,0]
//      v5, v1.l, v2.l, <SRC32-XMOD> quad_perm:[3,2,1,0]
//      v5, v1.h, v2.l, v3 op_sel:[1,0,0,0] quad_perm:[3,2,1,0]
//      v5, v1.l, v2.h, v3 op_sel:[0,1,0,0] quad_perm:[3,2,1,0]
//      v5, v1.l, v2.l, v3 quad_perm:[3,2,1,0] <BOUND-CTRL>
//      v5, v1.l, v2.l, v3 <DPP>
//      v5, v1.l, v2.l, v3 quad_perm:[3,2,1,0] <FI>
//      v5, v1.l, v2.l, v3 quad_perm:[3,2,1,0] <ROWBANK>
//      v5, v1.l, v2.l, v3 clamp quad_perm:[3,2,1,0]
//
//  <OPS-32-32-32>=
//      v5, v1, v2 quad_perm:[3,2,1,0]
//      v255, v255, v255 quad_perm:[3,2,1,0]
//      v5, <SRC32-XIMM>, v2 quad_perm:[3,2,1,0]
//      v5, v1, v2 quad_perm:[3,2,1,0] <BOUND-CTRL>
//      v5, v1, v2 <DPP>
//      v5, v1, v2 quad_perm:[3,2,1,0] <FI>
//      v5, v1, v2 <MULDIV> quad_perm:[3,2,1,0]
//      v5, v1, v2 quad_perm:[3,2,1,0] <ROWBANK>
//      v5, v1, v2 clamp quad_perm:[3,2,1,0]
//
//  <OPS-32-32-32-16>=
//      v5, v1, v2, v3.l quad_perm:[3,2,1,0]
//      v255, v255, v255, v255.l quad_perm:[3,2,1,0]
//      v5, v1, v2, <SRC16-XMOD> quad_perm:[3,2,1,0]
//      v5, v1, v2, v3.h op_sel:[0,0,1,0] quad_perm:[3,2,1,0]
//      v5, v1, v2, v3.l quad_perm:[3,2,1,0] <BOUND-CTRL>
//      v5, v1, v2, v3.l <DPP>
//      v5, v1, v2, v3.l quad_perm:[3,2,1,0] <FI>
//      v5, v1, v2, v3.l quad_perm:[3,2,1,0] <ROWBANK>
//      v5, v1, v2, v3.l clamp quad_perm:[3,2,1,0]
//
//  <OPS-32-32-32-32>=
//      v5, v1, v2, v3 quad_perm:[3,2,1,0]
//      v255, v255, v255, v255 quad_perm:[3,2,1,0]
//      v5, <SRC32-XIMM>, v2, v3 quad_perm:[3,2,1,0]
//      v5, v1, <SRC32-XIMM>, v3 quad_perm:[3,2,1,0]
//      v5, v1, v2, <SRC32> quad_perm:[3,2,1,0]
//      v5, v1, v2, v3 quad_perm:[3,2,1,0] <BOUND-CTRL>
//      v5, v1, v2, v3 <DPP>
//      v5, v1, v2, v3 quad_perm:[3,2,1,0] <FI>
//      v5, v1, v2, v3 <MULDIV> quad_perm:[3,2,1,0]
//      v5, v1, v2, v3 quad_perm:[3,2,1,0] <ROWBANK>
//      v5, v1, v2, v3 clamp quad_perm:[3,2,1,0]
//
//  <OPS-32-32-32-32-XMOD-XMULDIV-XCLAMP>=
//      v5, v1, v2, v3 quad_perm:[3,2,1,0]
//      v255, v255, v255, v255 quad_perm:[3,2,1,0]
//      v5, v1, v2, <SRC32-XMOD> quad_perm:[3,2,1,0]
//      v5, v1, v2, v3 quad_perm:[3,2,1,0] <BOUND-CTRL>
//      v5, v1, v2, v3 <DPP>
//      v5, v1, v2, v3 quad_perm:[3,2,1,0] <FI>
//      v5, v1, v2, v3 quad_perm:[3,2,1,0] <ROWBANK>
//
//  <OPS-32-32-32-32-XMOD-XMULDIV>=
//      <OPS-32-32-32-32-XMOD-XMULDIV-XCLAMP>
//      v5, v1, v2, v3 clamp quad_perm:[3,2,1,0]
//
//  <OPS-32-32-32-32-XMULDIV-XCLAMP>=
//      v5, v1, v2, v3 quad_perm:[3,2,1,0]
//      v255, v255, v255, v255 quad_perm:[3,2,1,0]
//      v5, <SRC32-XIMM>, v2, v3 quad_perm:[3,2,1,0]
//      v5, v1, v2, <SRC32-XMOD> quad_perm:[3,2,1,0]
//      v5, v1, v2, v3 quad_perm:[3,2,1,0] <BOUND-CTRL>
//      v5, v1, v2, v3 <DPP>
//      v5, v1, v2, v3 quad_perm:[3,2,1,0] <FI>
//      v5, v1, v2, v3 quad_perm:[3,2,1,0] <ROWBANK>
//
//  <OPS-32-32-32-XMOD-XMULDIV-XCLAMP>=
//      v5, v1, v2 quad_perm:[3,2,1,0]
//      v255, v255, v255 quad_perm:[3,2,1,0]
//      v5, v1, v2 quad_perm:[3,2,1,0] <BOUND-CTRL>
//      v5, v1, v2 <DPP>
//      v5, v1, v2 quad_perm:[3,2,1,0] <FI>
//      v5, v1, v2 quad_perm:[3,2,1,0] <ROWBANK>
//
//  <OPS-32-32-32-XMOD-XMULDIV>=
//      <OPS-32-32-32-XMOD-XMULDIV-XCLAMP>
//      v5, v1, v2 clamp quad_perm:[3,2,1,0]
//
//  <OPS-32-32-32-XMULDIV-XCLAMP>=
//      v5, v1, v2 quad_perm:[3,2,1,0]
//      v255, v255, v255 quad_perm:[3,2,1,0]
//      v5, <SRC32-XIMM>, v2 quad_perm:[3,2,1,0]
//      v5, v1, <SRC32-XIMM> quad_perm:[3,2,1,0]
//      v5, v1, v2 quad_perm:[3,2,1,0] <BOUND-CTRL>
//      v5, v1, v2 <DPP>
//      v5, v1, v2 quad_perm:[3,2,1,0] <FI>
//      v5, v1, v2 quad_perm:[3,2,1,0] <ROWBANK>
//
//  <OPS-32-M64-32-32>=
//      v5, s6, v1, v2 quad_perm:[3,2,1,0]
//      v255, null, v255, v255 quad_perm:[3,2,1,0]
//      v5, <SREG-M64>, v1, v2 quad_perm:[3,2,1,0]
//      v5, s6, v1, v2 quad_perm:[3,2,1,0] <BOUND-CTRL>
//      v5, s6, v1, v2 <DPP>
//      v5, s6, v1, v2 quad_perm:[3,2,1,0] <FI>
//      v5, s6, v1, v2 quad_perm:[3,2,1,0] <ROWBANK>
//      v5, s6, v1, v2 clamp quad_perm:[3,2,1,0]

v_add3_u32_e64_dpp v5, v1, v2, v3 quad_perm:[3,2,1,0]
// GFX11: v_add3_u32_e64_dpp v5, v1, v2, v3 quad_perm:[3,2,1,0] row_mask:0xf bank_mask:0xf ; encoding: [0x05,0x00,0x55,0xd6,0xfa,0x04,0x0e,0x04,0x01,0x1b,0x00,0xff]

v_add3_u32_e64_dpp v255, v255, v255, v255 quad_perm:[3,2,1,0]
// GFX11: v_add3_u32_e64_dpp v255, v255, v255, v255 quad_perm:[3,2,1,0] row_mask:0xf bank_mask:0xf ; encoding: [0xff,0x00,0x55,0xd6,0xfa,0xfe,0xff,0x07,0xff,0x1b,0x00,0xff]

v_add3_u32_e64_dpp v5, v1, v2, -1 quad_perm:[3,2,1,0]
// GFX11: v_add3_u32_e64_dpp v5, v1, v2, -1 quad_perm:[3,2,1,0] row_mask:0xf bank_mask:0xf ; encoding: [0x05,0x00,0x55,0xd6,0xfa,0x04,0x06,0x03,0x01,0x1b,0x00,0xff]

v_add3_u32_e64_dpp v5, v1, v2, 0.5 quad_perm:[3,2,1,0]
// GFX11: v_add3_u32_e64_dpp v5, v1, v2, 0.5 quad_perm:[3,2,1,0] row_mask:0xf bank_mask:0xf ; encoding: [0x05,0x00,0x55,0xd6,0xfa,0x04,0xc2,0x03,0x01,0x1b,0x00,0xff]

v_add3_u32_e64_dpp v5, v1, v2, exec_hi quad_perm:[3,2,1,0]
// GFX11: v_add3_u32_e64_dpp v5, v1, v2, exec_hi quad_perm:[3,2,1,0] row_mask:0xf bank_mask:0xf ; encoding: [0x05,0x00,0x55,0xd6,0xfa,0x04,0xfe,0x01,0x01,0x1b,0x00,0xff]

v_add3_u32_e64_dpp v5, v1, v2, exec_lo quad_perm:[3,2,1,0]
// GFX11: v_add3_u32_e64_dpp v5, v1, v2, exec_lo quad_perm:[3,2,1,0] row_mask:0xf bank_mask:0xf ; encoding: [0x05,0x00,0x55,0xd6,0xfa,0x04,0xfa,0x01,0x01,0x1b,0x00,0xff]

v_add3_u32_e64_dpp v5, v1, v2, m0 quad_perm:[3,2,1,0]
// GFX11: v_add3_u32_e64_dpp v5, v1, v2, m0 quad_perm:[3,2,1,0] row_mask:0xf bank_mask:0xf ; encoding: [0x05,0x00,0x55,0xd6,0xfa,0x04,0xf6,0x01,0x01,0x1b,0x00,0xff]

v_add3_u32_e64_dpp v5, v1, v2, null quad_perm:[3,2,1,0]
// GFX11: v_add3_u32_e64_dpp v5, v1, v2, null quad_perm:[3,2,1,0] row_mask:0xf bank_mask:0xf ; encoding: [0x05,0x00,0x55,0xd6,0xfa,0x04,0xf2,0x01,0x01,0x1b,0x00,0xff]

v_add3_u32_e64_dpp v5, v1, v2, s105 quad_perm:[3,2,1,0]
// GFX11: v_add3_u32_e64_dpp v5, v1, v2, s105 quad_perm:[3,2,1,0] row_mask:0xf bank_mask:0xf ; encoding: [0x05,0x00,0x55,0xd6,0xfa,0x04,0xa6,0x01,0x01,0x1b,0x00,0xff]

v_add3_u32_e64_dpp v5, v1, v2, s3 quad_perm:[3,2,1,0]
// GFX11: v_add3_u32_e64_dpp v5, v1, v2, s3 quad_perm:[3,2,1,0] row_mask:0xf bank_mask:0xf ; encoding: [0x05,0x00,0x55,0xd6,0xfa,0x04,0x0e,0x00,0x01,0x1b,0x00,0xff]

v_add3_u32_e64_dpp v5, v1, v2, src_scc quad_perm:[3,2,1,0]
// GFX11: v_add3_u32_e64_dpp v5, v1, v2, src_scc quad_perm:[3,2,1,0] row_mask:0xf bank_mask:0xf ; encoding: [0x05,0x00,0x55,0xd6,0xfa,0x04,0xf6,0x03,0x01,0x1b,0x00,0xff]

v_add3_u32_e64_dpp v5, v1, v2, ttmp15 quad_perm:[3,2,1,0]
// GFX11: v_add3_u32_e64_dpp v5, v1, v2, ttmp15 quad_perm:[3,2,1,0] row_mask:0xf bank_mask:0xf ; encoding: [0x05,0x00,0x55,0xd6,0xfa,0x04,0xee,0x01,0x01,0x1b,0x00,0xff]

v_add3_u32_e64_dpp v5, v1, v2, v255 quad_perm:[3,2,1,0]
// GFX11: v_add3_u32_e64_dpp v5, v1, v2, v255 quad_perm:[3,2,1,0] row_mask:0xf bank_mask:0xf ; encoding: [0x05,0x00,0x55,0xd6,0xfa,0x04,0xfe,0x07,0x01,0x1b,0x00,0xff]

v_add3_u32_e64_dpp v5, v1, v2, vcc_hi quad_perm:[3,2,1,0]
// GFX11: v_add3_u32_e64_dpp v5, v1, v2, vcc_hi quad_perm:[3,2,1,0] row_mask:0xf bank_mask:0xf ; encoding: [0x05,0x00,0x55,0xd6,0xfa,0x04,0xae,0x01,0x01,0x1b,0x00,0xff]

v_add3_u32_e64_dpp v5, v1, v2, vcc_lo quad_perm:[3,2,1,0]
// GFX11: v_add3_u32_e64_dpp v5, v1, v2, vcc_lo quad_perm:[3,2,1,0] row_mask:0xf bank_mask:0xf ; encoding: [0x05,0x00,0x55,0xd6,0xfa,0x04,0xaa,0x01,0x01,0x1b,0x00,0xff]

v_add3_u32_e64_dpp v5, v1, v2, v3 quad_perm:[3,2,1,0] bound_ctrl:0
// GFX11: v_add3_u32_e64_dpp v5, v1, v2, v3 quad_perm:[3,2,1,0] row_mask:0xf bank_mask:0xf ; encoding: [0x05,0x00,0x55,0xd6,0xfa,0x04,0x0e,0x04,0x01,0x1b,0x00,0xff]

v_add3_u32_e64_dpp v5, v1, v2, v3 quad_perm:[3,2,1,0] bound_ctrl:1
// GFX11: v_add3_u32_e64_dpp v5, v1, v2, v3 quad_perm:[3,2,1,0] row_mask:0xf bank_mask:0xf bound_ctrl:1 ; encoding: [0x05,0x00,0x55,0xd6,0xfa,0x04,0x0e,0x04,0x01,0x1b,0x08,0xff]

v_add3_u32_e64_dpp v5, v1, v2, v3 quad_perm:[0,1,2,3]
// GFX11: v_add3_u32_e64_dpp v5, v1, v2, v3 quad_perm:[0,1,2,3] row_mask:0xf bank_mask:0xf ; encoding: [0x05,0x00,0x55,0xd6,0xfa,0x04,0x0e,0x04,0x01,0xe4,0x00,0xff]

v_add3_u32_e64_dpp v5, v1, v2, v3 row_half_mirror
// GFX11: v_add3_u32_e64_dpp v5, v1, v2, v3 row_half_mirror row_mask:0xf bank_mask:0xf ; encoding: [0x05,0x00,0x55,0xd6,0xfa,0x04,0x0e,0x04,0x01,0x41,0x01,0xff]

v_add3_u32_e64_dpp v5, v1, v2, v3 row_mirror
// GFX11: v_add3_u32_e64_dpp v5, v1, v2, v3 row_mirror row_mask:0xf bank_mask:0xf ; encoding: [0x05,0x00,0x55,0xd6,0xfa,0x04,0x0e,0x04,0x01,0x40,0x01,0xff]

v_add3_u32_e64_dpp v5, v1, v2, v3 row_ror:1
// GFX11: v_add3_u32_e64_dpp v5, v1, v2, v3 row_ror:1 row_mask:0xf bank_mask:0xf ; encoding: [0x05,0x00,0x55,0xd6,0xfa,0x04,0x0e,0x04,0x01,0x21,0x01,0xff]

v_add3_u32_e64_dpp v5, v1, v2, v3 row_ror:15
// GFX11: v_add3_u32_e64_dpp v5, v1, v2, v3 row_ror:15 row_mask:0xf bank_mask:0xf ; encoding: [0x05,0x00,0x55,0xd6,0xfa,0x04,0x0e,0x04,0x01,0x2f,0x01,0xff]

v_add3_u32_e64_dpp v5, v1, v2, v3 row_share:0
// GFX11: v_add3_u32_e64_dpp v5, v1, v2, v3 row_share:0 row_mask:0xf bank_mask:0xf ; encoding: [0x05,0x00,0x55,0xd6,0xfa,0x04,0x0e,0x04,0x01,0x50,0x01,0xff]

v_add3_u32_e64_dpp v5, v1, v2, v3 row_share:15
// GFX11: v_add3_u32_e64_dpp v5, v1, v2, v3 row_share:15 row_mask:0xf bank_mask:0xf ; encoding: [0x05,0x00,0x55,0xd6,0xfa,0x04,0x0e,0x04,0x01,0x5f,0x01,0xff]

v_add3_u32_e64_dpp v5, v1, v2, v3 row_shl:1
// GFX11: v_add3_u32_e64_dpp v5, v1, v2, v3 row_shl:1 row_mask:0xf bank_mask:0xf ; encoding: [0x05,0x00,0x55,0xd6,0xfa,0x04,0x0e,0x04,0x01,0x01,0x01,0xff]

v_add3_u32_e64_dpp v5, v1, v2, v3 row_shl:15
// GFX11: v_add3_u32_e64_dpp v5, v1, v2, v3 row_shl:15 row_mask:0xf bank_mask:0xf ; encoding: [0x05,0x00,0x55,0xd6,0xfa,0x04,0x0e,0x04,0x01,0x0f,0x01,0xff]

v_add3_u32_e64_dpp v5, v1, v2, v3 row_shr:1
// GFX11: v_add3_u32_e64_dpp v5, v1, v2, v3 row_shr:1 row_mask:0xf bank_mask:0xf ; encoding: [0x05,0x00,0x55,0xd6,0xfa,0x04,0x0e,0x04,0x01,0x11,0x01,0xff]

v_add3_u32_e64_dpp v5, v1, v2, v3 row_shr:15
// GFX11: v_add3_u32_e64_dpp v5, v1, v2, v3 row_shr:15 row_mask:0xf bank_mask:0xf ; encoding: [0x05,0x00,0x55,0xd6,0xfa,0x04,0x0e,0x04,0x01,0x1f,0x01,0xff]

v_add3_u32_e64_dpp v5, v1, v2, v3 row_xmask:0
// GFX11: v_add3_u32_e64_dpp v5, v1, v2, v3 row_xmask:0 row_mask:0xf bank_mask:0xf ; encoding: [0x05,0x00,0x55,0xd6,0xfa,0x04,0x0e,0x04,0x01,0x60,0x01,0xff]

v_add3_u32_e64_dpp v5, v1, v2, v3 row_xmask:15
// GFX11: v_add3_u32_e64_dpp v5, v1, v2, v3 row_xmask:15 row_mask:0xf bank_mask:0xf ; encoding: [0x05,0x00,0x55,0xd6,0xfa,0x04,0x0e,0x04,0x01,0x6f,0x01,0xff]

v_add3_u32_e64_dpp v5, v1, v2, v3 quad_perm:[3,2,1,0] fi:0
// GFX11: v_add3_u32_e64_dpp v5, v1, v2, v3 quad_perm:[3,2,1,0] row_mask:0xf bank_mask:0xf ; encoding: [0x05,0x00,0x55,0xd6,0xfa,0x04,0x0e,0x04,0x01,0x1b,0x00,0xff]

v_add3_u32_e64_dpp v5, v1, v2, v3 quad_perm:[3,2,1,0] fi:1
// GFX11: v_add3_u32_e64_dpp v5, v1, v2, v3 quad_perm:[3,2,1,0] row_mask:0xf bank_mask:0xf fi:1 ; encoding: [0x05,0x00,0x55,0xd6,0xfa,0x04,0x0e,0x04,0x01,0x1b,0x04,0xff]

v_add3_u32_e64_dpp v5, v1, v2, v3 quad_perm:[3,2,1,0] row_mask:0x0 bank_mask:0x1
// GFX11: v_add3_u32_e64_dpp v5, v1, v2, v3 quad_perm:[3,2,1,0] row_mask:0x0 bank_mask:0x1 ; encoding: [0x05,0x00,0x55,0xd6,0xfa,0x04,0x0e,0x04,0x01,0x1b,0x00,0x01]

v_add3_u32_e64_dpp v5, v1, v2, v3 quad_perm:[3,2,1,0] row_mask:0x3 bank_mask:0x0
// GFX11: v_add3_u32_e64_dpp v5, v1, v2, v3 quad_perm:[3,2,1,0] row_mask:0x3 bank_mask:0x0 ; encoding: [0x05,0x00,0x55,0xd6,0xfa,0x04,0x0e,0x04,0x01,0x1b,0x00,0x30]
	;; [unrolled: 3-line block ×3, first 2 shown]

v_add_co_u32_e64_dpp v5, s6, v1, v2 quad_perm:[3,2,1,0]
// W32: v_add_co_u32_e64_dpp v5, s6, v1, v2 quad_perm:[3,2,1,0] row_mask:0xf bank_mask:0xf ; encoding: [0x05,0x06,0x00,0xd7,0xfa,0x04,0x02,0x00,0x01,0x1b,0x00,0xff]
// W64-ERR: :[[@LINE-2]]:26: error: invalid operand for instruction

v_add_co_u32_e64_dpp v255, null, v255, v255 quad_perm:[3,2,1,0]
// GFX11: v_add_co_u32_e64_dpp v255, null, v255, v255 quad_perm:[3,2,1,0] row_mask:0xf bank_mask:0xf ; encoding: [0xff,0x7c,0x00,0xd7,0xfa,0xfe,0x03,0x00,0xff,0x1b,0x00,0xff]

v_add_co_u32_e64_dpp v5, s105, v1, v2 quad_perm:[3,2,1,0]
// W32: v_add_co_u32_e64_dpp v5, s105, v1, v2 quad_perm:[3,2,1,0] row_mask:0xf bank_mask:0xf ; encoding: [0x05,0x69,0x00,0xd7,0xfa,0x04,0x02,0x00,0x01,0x1b,0x00,0xff]
// W64-ERR: :[[@LINE-2]]:26: error: invalid operand for instruction

v_add_co_u32_e64_dpp v5, s[12:13], v1, v2 quad_perm:[3,2,1,0]
// W32-ERR: :[[@LINE-1]]:26: error: invalid operand for instruction
// W64: v_add_co_u32_e64_dpp v5, s[12:13], v1, v2 quad_perm:[3,2,1,0] row_mask:0xf bank_mask:0xf ; encoding: [0x05,0x0c,0x00,0xd7,0xfa,0x04,0x02,0x00,0x01,0x1b,0x00,0xff]

v_add_co_u32_e64_dpp v5, s[104:105], v1, v2 quad_perm:[3,2,1,0]
// W32-ERR: :[[@LINE-1]]:26: error: invalid operand for instruction
// W64: v_add_co_u32_e64_dpp v5, s[104:105], v1, v2 quad_perm:[3,2,1,0] row_mask:0xf bank_mask:0xf ; encoding: [0x05,0x68,0x00,0xd7,0xfa,0x04,0x02,0x00,0x01,0x1b,0x00,0xff]

v_add_co_u32_e64_dpp v5, vcc_lo, v1, v2 quad_perm:[3,2,1,0]
// W32: v_add_co_u32_e64_dpp v5, vcc_lo, v1, v2 quad_perm:[3,2,1,0] row_mask:0xf bank_mask:0xf ; encoding: [0x05,0x6a,0x00,0xd7,0xfa,0x04,0x02,0x00,0x01,0x1b,0x00,0xff]
// W64-ERR: :[[@LINE-2]]:26: error: invalid operand for instruction

v_add_co_u32_e64_dpp v5, vcc_hi, v1, v2 quad_perm:[3,2,1,0]
// W32: v_add_co_u32_e64_dpp v5, vcc_hi, v1, v2 quad_perm:[3,2,1,0] row_mask:0xf bank_mask:0xf ; encoding: [0x05,0x6b,0x00,0xd7,0xfa,0x04,0x02,0x00,0x01,0x1b,0x00,0xff]
// W64-ERR: :[[@LINE-2]]:26: error: invalid operand for instruction

v_add_co_u32_e64_dpp v5, vcc, v1, v2 quad_perm:[3,2,1,0]
// W32-ERR: :[[@LINE-1]]:26: error: invalid operand for instruction
// W64: v_add_co_u32_e64_dpp v5, vcc, v1, v2 quad_perm:[3,2,1,0] row_mask:0xf bank_mask:0xf ; encoding: [0x05,0x6a,0x00,0xd7,0xfa,0x04,0x02,0x00,0x01,0x1b,0x00,0xff]

v_add_co_u32_e64_dpp v5, ttmp15, v1, v2 quad_perm:[3,2,1,0]
// W32: v_add_co_u32_e64_dpp v5, ttmp15, v1, v2 quad_perm:[3,2,1,0] row_mask:0xf bank_mask:0xf ; encoding: [0x05,0x7b,0x00,0xd7,0xfa,0x04,0x02,0x00,0x01,0x1b,0x00,0xff]
// W64-ERR: :[[@LINE-2]]:26: error: invalid operand for instruction

v_add_co_u32_e64_dpp v5, ttmp[14:15], v1, v2 quad_perm:[3,2,1,0]
// W32-ERR: :[[@LINE-1]]:26: error: invalid operand for instruction
// W64: v_add_co_u32_e64_dpp v5, ttmp[14:15], v1, v2 quad_perm:[3,2,1,0] row_mask:0xf bank_mask:0xf ; encoding: [0x05,0x7a,0x00,0xd7,0xfa,0x04,0x02,0x00,0x01,0x1b,0x00,0xff]

v_add_co_u32_e64_dpp v5, null, v1, v2 quad_perm:[3,2,1,0]
// GFX11: v_add_co_u32_e64_dpp v5, null, v1, v2 quad_perm:[3,2,1,0] row_mask:0xf bank_mask:0xf ; encoding: [0x05,0x7c,0x00,0xd7,0xfa,0x04,0x02,0x00,0x01,0x1b,0x00,0xff]

v_add_co_u32_e64_dpp v5, s6, v1, v2 quad_perm:[3,2,1,0] bound_ctrl:0
// W32: v_add_co_u32_e64_dpp v5, s6, v1, v2 quad_perm:[3,2,1,0] row_mask:0xf bank_mask:0xf ; encoding: [0x05,0x06,0x00,0xd7,0xfa,0x04,0x02,0x00,0x01,0x1b,0x00,0xff]
// W64-ERR: :[[@LINE-2]]:26: error: invalid operand for instruction

v_add_co_u32_e64_dpp v5, s6, v1, v2 quad_perm:[3,2,1,0] bound_ctrl:1
// W32: v_add_co_u32_e64_dpp v5, s6, v1, v2 quad_perm:[3,2,1,0] row_mask:0xf bank_mask:0xf bound_ctrl:1 ; encoding: [0x05,0x06,0x00,0xd7,0xfa,0x04,0x02,0x00,0x01,0x1b,0x08,0xff]
// W64-ERR: :[[@LINE-2]]:26: error: invalid operand for instruction

v_add_co_u32_e64_dpp v5, s6, v1, v2 quad_perm:[0,1,2,3]
// W32: v_add_co_u32_e64_dpp v5, s6, v1, v2 quad_perm:[0,1,2,3] row_mask:0xf bank_mask:0xf ; encoding: [0x05,0x06,0x00,0xd7,0xfa,0x04,0x02,0x00,0x01,0xe4,0x00,0xff]
// W64-ERR: :[[@LINE-2]]:26: error: invalid operand for instruction

v_add_co_u32_e64_dpp v5, s6, v1, v2 row_half_mirror
// W32: v_add_co_u32_e64_dpp v5, s6, v1, v2 row_half_mirror row_mask:0xf bank_mask:0xf ; encoding: [0x05,0x06,0x00,0xd7,0xfa,0x04,0x02,0x00,0x01,0x41,0x01,0xff]
// W64-ERR: :[[@LINE-2]]:26: error: invalid operand for instruction

v_add_co_u32_e64_dpp v5, s6, v1, v2 row_mirror
// W32: v_add_co_u32_e64_dpp v5, s6, v1, v2 row_mirror row_mask:0xf bank_mask:0xf ; encoding: [0x05,0x06,0x00,0xd7,0xfa,0x04,0x02,0x00,0x01,0x40,0x01,0xff]
// W64-ERR: :[[@LINE-2]]:26: error: invalid operand for instruction

v_add_co_u32_e64_dpp v5, s6, v1, v2 row_ror:1
// W32: v_add_co_u32_e64_dpp v5, s6, v1, v2 row_ror:1 row_mask:0xf bank_mask:0xf ; encoding: [0x05,0x06,0x00,0xd7,0xfa,0x04,0x02,0x00,0x01,0x21,0x01,0xff]
// W64-ERR: :[[@LINE-2]]:26: error: invalid operand for instruction

v_add_co_u32_e64_dpp v5, s6, v1, v2 row_ror:15
// W32: v_add_co_u32_e64_dpp v5, s6, v1, v2 row_ror:15 row_mask:0xf bank_mask:0xf ; encoding: [0x05,0x06,0x00,0xd7,0xfa,0x04,0x02,0x00,0x01,0x2f,0x01,0xff]
// W64-ERR: :[[@LINE-2]]:26: error: invalid operand for instruction

v_add_co_u32_e64_dpp v5, s6, v1, v2 row_share:0
// W32: v_add_co_u32_e64_dpp v5, s6, v1, v2 row_share:0 row_mask:0xf bank_mask:0xf ; encoding: [0x05,0x06,0x00,0xd7,0xfa,0x04,0x02,0x00,0x01,0x50,0x01,0xff]
// W64-ERR: :[[@LINE-2]]:26: error: invalid operand for instruction

v_add_co_u32_e64_dpp v5, s6, v1, v2 row_share:15
// W32: v_add_co_u32_e64_dpp v5, s6, v1, v2 row_share:15 row_mask:0xf bank_mask:0xf ; encoding: [0x05,0x06,0x00,0xd7,0xfa,0x04,0x02,0x00,0x01,0x5f,0x01,0xff]
// W64-ERR: :[[@LINE-2]]:26: error: invalid operand for instruction

v_add_co_u32_e64_dpp v5, s6, v1, v2 row_shl:1
// W32: v_add_co_u32_e64_dpp v5, s6, v1, v2 row_shl:1 row_mask:0xf bank_mask:0xf ; encoding: [0x05,0x06,0x00,0xd7,0xfa,0x04,0x02,0x00,0x01,0x01,0x01,0xff]
// W64-ERR: :[[@LINE-2]]:26: error: invalid operand for instruction

v_add_co_u32_e64_dpp v5, s6, v1, v2 row_shl:15
// W32: v_add_co_u32_e64_dpp v5, s6, v1, v2 row_shl:15 row_mask:0xf bank_mask:0xf ; encoding: [0x05,0x06,0x00,0xd7,0xfa,0x04,0x02,0x00,0x01,0x0f,0x01,0xff]
// W64-ERR: :[[@LINE-2]]:26: error: invalid operand for instruction

v_add_co_u32_e64_dpp v5, s6, v1, v2 row_shr:1
// W32: v_add_co_u32_e64_dpp v5, s6, v1, v2 row_shr:1 row_mask:0xf bank_mask:0xf ; encoding: [0x05,0x06,0x00,0xd7,0xfa,0x04,0x02,0x00,0x01,0x11,0x01,0xff]
// W64-ERR: :[[@LINE-2]]:26: error: invalid operand for instruction

v_add_co_u32_e64_dpp v5, s6, v1, v2 row_shr:15
// W32: v_add_co_u32_e64_dpp v5, s6, v1, v2 row_shr:15 row_mask:0xf bank_mask:0xf ; encoding: [0x05,0x06,0x00,0xd7,0xfa,0x04,0x02,0x00,0x01,0x1f,0x01,0xff]
// W64-ERR: :[[@LINE-2]]:26: error: invalid operand for instruction

v_add_co_u32_e64_dpp v5, s6, v1, v2 row_xmask:0
// W32: v_add_co_u32_e64_dpp v5, s6, v1, v2 row_xmask:0 row_mask:0xf bank_mask:0xf ; encoding: [0x05,0x06,0x00,0xd7,0xfa,0x04,0x02,0x00,0x01,0x60,0x01,0xff]
// W64-ERR: :[[@LINE-2]]:26: error: invalid operand for instruction

v_add_co_u32_e64_dpp v5, s6, v1, v2 row_xmask:15
// W32: v_add_co_u32_e64_dpp v5, s6, v1, v2 row_xmask:15 row_mask:0xf bank_mask:0xf ; encoding: [0x05,0x06,0x00,0xd7,0xfa,0x04,0x02,0x00,0x01,0x6f,0x01,0xff]
// W64-ERR: :[[@LINE-2]]:26: error: invalid operand for instruction

v_add_co_u32_e64_dpp v5, s6, v1, v2 quad_perm:[3,2,1,0] fi:0
// W32: v_add_co_u32_e64_dpp v5, s6, v1, v2 quad_perm:[3,2,1,0] row_mask:0xf bank_mask:0xf ; encoding: [0x05,0x06,0x00,0xd7,0xfa,0x04,0x02,0x00,0x01,0x1b,0x00,0xff]
// W64-ERR: :[[@LINE-2]]:26: error: invalid operand for instruction

v_add_co_u32_e64_dpp v5, s6, v1, v2 quad_perm:[3,2,1,0] fi:1
// W32: v_add_co_u32_e64_dpp v5, s6, v1, v2 quad_perm:[3,2,1,0] row_mask:0xf bank_mask:0xf fi:1 ; encoding: [0x05,0x06,0x00,0xd7,0xfa,0x04,0x02,0x00,0x01,0x1b,0x04,0xff]
// W64-ERR: :[[@LINE-2]]:26: error: invalid operand for instruction

v_add_co_u32_e64_dpp v5, s6, v1, v2 quad_perm:[3,2,1,0] row_mask:0x0 bank_mask:0x1
// W32: v_add_co_u32_e64_dpp v5, s6, v1, v2 quad_perm:[3,2,1,0] row_mask:0x0 bank_mask:0x1 ; encoding: [0x05,0x06,0x00,0xd7,0xfa,0x04,0x02,0x00,0x01,0x1b,0x00,0x01]
// W64-ERR: :[[@LINE-2]]:26: error: invalid operand for instruction

v_add_co_u32_e64_dpp v5, s6, v1, v2 quad_perm:[3,2,1,0] row_mask:0x3 bank_mask:0x0
// W32: v_add_co_u32_e64_dpp v5, s6, v1, v2 quad_perm:[3,2,1,0] row_mask:0x3 bank_mask:0x0 ; encoding: [0x05,0x06,0x00,0xd7,0xfa,0x04,0x02,0x00,0x01,0x1b,0x00,0x30]
	;; [unrolled: 4-line block ×3, first 2 shown]
// W64-ERR: :[[@LINE-2]]:26: error: invalid operand for instruction

v_add_co_u32_e64_dpp v5, s6, v1, v2 clamp quad_perm:[3,2,1,0]
// W32: v_add_co_u32_e64_dpp v5, s6, v1, v2 clamp quad_perm:[3,2,1,0] row_mask:0xf bank_mask:0xf ; encoding: [0x05,0x86,0x00,0xd7,0xfa,0x04,0x02,0x00,0x01,0x1b,0x00,0xff]
// W64-ERR: :[[@LINE-2]]:26: error: invalid operand for instruction

v_add_lshl_u32_e64_dpp v5, v1, v2, v3 quad_perm:[3,2,1,0]
// GFX11: v_add_lshl_u32_e64_dpp v5, v1, v2, v3 quad_perm:[3,2,1,0] row_mask:0xf bank_mask:0xf ; encoding: [0x05,0x00,0x47,0xd6,0xfa,0x04,0x0e,0x04,0x01,0x1b,0x00,0xff]

v_add_lshl_u32_e64_dpp v255, v255, v255, v255 quad_perm:[3,2,1,0]
// GFX11: v_add_lshl_u32_e64_dpp v255, v255, v255, v255 quad_perm:[3,2,1,0] row_mask:0xf bank_mask:0xf ; encoding: [0xff,0x00,0x47,0xd6,0xfa,0xfe,0xff,0x07,0xff,0x1b,0x00,0xff]

v_add_lshl_u32_e64_dpp v5, v1, v2, -1 quad_perm:[3,2,1,0]
// GFX11: v_add_lshl_u32_e64_dpp v5, v1, v2, -1 quad_perm:[3,2,1,0] row_mask:0xf bank_mask:0xf ; encoding: [0x05,0x00,0x47,0xd6,0xfa,0x04,0x06,0x03,0x01,0x1b,0x00,0xff]

v_add_lshl_u32_e64_dpp v5, v1, v2, 0.5 quad_perm:[3,2,1,0]
// GFX11: v_add_lshl_u32_e64_dpp v5, v1, v2, 0.5 quad_perm:[3,2,1,0] row_mask:0xf bank_mask:0xf ; encoding: [0x05,0x00,0x47,0xd6,0xfa,0x04,0xc2,0x03,0x01,0x1b,0x00,0xff]

v_add_lshl_u32_e64_dpp v5, v1, v2, exec_hi quad_perm:[3,2,1,0]
// GFX11: v_add_lshl_u32_e64_dpp v5, v1, v2, exec_hi quad_perm:[3,2,1,0] row_mask:0xf bank_mask:0xf ; encoding: [0x05,0x00,0x47,0xd6,0xfa,0x04,0xfe,0x01,0x01,0x1b,0x00,0xff]

v_add_lshl_u32_e64_dpp v5, v1, v2, exec_lo quad_perm:[3,2,1,0]
// GFX11: v_add_lshl_u32_e64_dpp v5, v1, v2, exec_lo quad_perm:[3,2,1,0] row_mask:0xf bank_mask:0xf ; encoding: [0x05,0x00,0x47,0xd6,0xfa,0x04,0xfa,0x01,0x01,0x1b,0x00,0xff]

v_add_lshl_u32_e64_dpp v5, v1, v2, m0 quad_perm:[3,2,1,0]
// GFX11: v_add_lshl_u32_e64_dpp v5, v1, v2, m0 quad_perm:[3,2,1,0] row_mask:0xf bank_mask:0xf ; encoding: [0x05,0x00,0x47,0xd6,0xfa,0x04,0xf6,0x01,0x01,0x1b,0x00,0xff]

v_add_lshl_u32_e64_dpp v5, v1, v2, null quad_perm:[3,2,1,0]
// GFX11: v_add_lshl_u32_e64_dpp v5, v1, v2, null quad_perm:[3,2,1,0] row_mask:0xf bank_mask:0xf ; encoding: [0x05,0x00,0x47,0xd6,0xfa,0x04,0xf2,0x01,0x01,0x1b,0x00,0xff]

v_add_lshl_u32_e64_dpp v5, v1, v2, s105 quad_perm:[3,2,1,0]
// GFX11: v_add_lshl_u32_e64_dpp v5, v1, v2, s105 quad_perm:[3,2,1,0] row_mask:0xf bank_mask:0xf ; encoding: [0x05,0x00,0x47,0xd6,0xfa,0x04,0xa6,0x01,0x01,0x1b,0x00,0xff]

v_add_lshl_u32_e64_dpp v5, v1, v2, s3 quad_perm:[3,2,1,0]
// GFX11: v_add_lshl_u32_e64_dpp v5, v1, v2, s3 quad_perm:[3,2,1,0] row_mask:0xf bank_mask:0xf ; encoding: [0x05,0x00,0x47,0xd6,0xfa,0x04,0x0e,0x00,0x01,0x1b,0x00,0xff]

v_add_lshl_u32_e64_dpp v5, v1, v2, src_scc quad_perm:[3,2,1,0]
// GFX11: v_add_lshl_u32_e64_dpp v5, v1, v2, src_scc quad_perm:[3,2,1,0] row_mask:0xf bank_mask:0xf ; encoding: [0x05,0x00,0x47,0xd6,0xfa,0x04,0xf6,0x03,0x01,0x1b,0x00,0xff]

v_add_lshl_u32_e64_dpp v5, v1, v2, ttmp15 quad_perm:[3,2,1,0]
// GFX11: v_add_lshl_u32_e64_dpp v5, v1, v2, ttmp15 quad_perm:[3,2,1,0] row_mask:0xf bank_mask:0xf ; encoding: [0x05,0x00,0x47,0xd6,0xfa,0x04,0xee,0x01,0x01,0x1b,0x00,0xff]

v_add_lshl_u32_e64_dpp v5, v1, v2, v255 quad_perm:[3,2,1,0]
// GFX11: v_add_lshl_u32_e64_dpp v5, v1, v2, v255 quad_perm:[3,2,1,0] row_mask:0xf bank_mask:0xf ; encoding: [0x05,0x00,0x47,0xd6,0xfa,0x04,0xfe,0x07,0x01,0x1b,0x00,0xff]

v_add_lshl_u32_e64_dpp v5, v1, v2, vcc_hi quad_perm:[3,2,1,0]
// GFX11: v_add_lshl_u32_e64_dpp v5, v1, v2, vcc_hi quad_perm:[3,2,1,0] row_mask:0xf bank_mask:0xf ; encoding: [0x05,0x00,0x47,0xd6,0xfa,0x04,0xae,0x01,0x01,0x1b,0x00,0xff]

v_add_lshl_u32_e64_dpp v5, v1, v2, vcc_lo quad_perm:[3,2,1,0]
// GFX11: v_add_lshl_u32_e64_dpp v5, v1, v2, vcc_lo quad_perm:[3,2,1,0] row_mask:0xf bank_mask:0xf ; encoding: [0x05,0x00,0x47,0xd6,0xfa,0x04,0xaa,0x01,0x01,0x1b,0x00,0xff]

v_add_lshl_u32_e64_dpp v5, v1, v2, v3 quad_perm:[3,2,1,0] bound_ctrl:0
// GFX11: v_add_lshl_u32_e64_dpp v5, v1, v2, v3 quad_perm:[3,2,1,0] row_mask:0xf bank_mask:0xf ; encoding: [0x05,0x00,0x47,0xd6,0xfa,0x04,0x0e,0x04,0x01,0x1b,0x00,0xff]

v_add_lshl_u32_e64_dpp v5, v1, v2, v3 quad_perm:[3,2,1,0] bound_ctrl:1
// GFX11: v_add_lshl_u32_e64_dpp v5, v1, v2, v3 quad_perm:[3,2,1,0] row_mask:0xf bank_mask:0xf bound_ctrl:1 ; encoding: [0x05,0x00,0x47,0xd6,0xfa,0x04,0x0e,0x04,0x01,0x1b,0x08,0xff]

v_add_lshl_u32_e64_dpp v5, v1, v2, v3 quad_perm:[0,1,2,3]
// GFX11: v_add_lshl_u32_e64_dpp v5, v1, v2, v3 quad_perm:[0,1,2,3] row_mask:0xf bank_mask:0xf ; encoding: [0x05,0x00,0x47,0xd6,0xfa,0x04,0x0e,0x04,0x01,0xe4,0x00,0xff]

v_add_lshl_u32_e64_dpp v5, v1, v2, v3 row_half_mirror
// GFX11: v_add_lshl_u32_e64_dpp v5, v1, v2, v3 row_half_mirror row_mask:0xf bank_mask:0xf ; encoding: [0x05,0x00,0x47,0xd6,0xfa,0x04,0x0e,0x04,0x01,0x41,0x01,0xff]

v_add_lshl_u32_e64_dpp v5, v1, v2, v3 row_mirror
// GFX11: v_add_lshl_u32_e64_dpp v5, v1, v2, v3 row_mirror row_mask:0xf bank_mask:0xf ; encoding: [0x05,0x00,0x47,0xd6,0xfa,0x04,0x0e,0x04,0x01,0x40,0x01,0xff]

v_add_lshl_u32_e64_dpp v5, v1, v2, v3 row_ror:1
// GFX11: v_add_lshl_u32_e64_dpp v5, v1, v2, v3 row_ror:1 row_mask:0xf bank_mask:0xf ; encoding: [0x05,0x00,0x47,0xd6,0xfa,0x04,0x0e,0x04,0x01,0x21,0x01,0xff]

v_add_lshl_u32_e64_dpp v5, v1, v2, v3 row_ror:15
// GFX11: v_add_lshl_u32_e64_dpp v5, v1, v2, v3 row_ror:15 row_mask:0xf bank_mask:0xf ; encoding: [0x05,0x00,0x47,0xd6,0xfa,0x04,0x0e,0x04,0x01,0x2f,0x01,0xff]

v_add_lshl_u32_e64_dpp v5, v1, v2, v3 row_share:0
// GFX11: v_add_lshl_u32_e64_dpp v5, v1, v2, v3 row_share:0 row_mask:0xf bank_mask:0xf ; encoding: [0x05,0x00,0x47,0xd6,0xfa,0x04,0x0e,0x04,0x01,0x50,0x01,0xff]

v_add_lshl_u32_e64_dpp v5, v1, v2, v3 row_share:15
// GFX11: v_add_lshl_u32_e64_dpp v5, v1, v2, v3 row_share:15 row_mask:0xf bank_mask:0xf ; encoding: [0x05,0x00,0x47,0xd6,0xfa,0x04,0x0e,0x04,0x01,0x5f,0x01,0xff]

v_add_lshl_u32_e64_dpp v5, v1, v2, v3 row_shl:1
// GFX11: v_add_lshl_u32_e64_dpp v5, v1, v2, v3 row_shl:1 row_mask:0xf bank_mask:0xf ; encoding: [0x05,0x00,0x47,0xd6,0xfa,0x04,0x0e,0x04,0x01,0x01,0x01,0xff]

v_add_lshl_u32_e64_dpp v5, v1, v2, v3 row_shl:15
// GFX11: v_add_lshl_u32_e64_dpp v5, v1, v2, v3 row_shl:15 row_mask:0xf bank_mask:0xf ; encoding: [0x05,0x00,0x47,0xd6,0xfa,0x04,0x0e,0x04,0x01,0x0f,0x01,0xff]

v_add_lshl_u32_e64_dpp v5, v1, v2, v3 row_shr:1
// GFX11: v_add_lshl_u32_e64_dpp v5, v1, v2, v3 row_shr:1 row_mask:0xf bank_mask:0xf ; encoding: [0x05,0x00,0x47,0xd6,0xfa,0x04,0x0e,0x04,0x01,0x11,0x01,0xff]

v_add_lshl_u32_e64_dpp v5, v1, v2, v3 row_shr:15
// GFX11: v_add_lshl_u32_e64_dpp v5, v1, v2, v3 row_shr:15 row_mask:0xf bank_mask:0xf ; encoding: [0x05,0x00,0x47,0xd6,0xfa,0x04,0x0e,0x04,0x01,0x1f,0x01,0xff]

v_add_lshl_u32_e64_dpp v5, v1, v2, v3 row_xmask:0
// GFX11: v_add_lshl_u32_e64_dpp v5, v1, v2, v3 row_xmask:0 row_mask:0xf bank_mask:0xf ; encoding: [0x05,0x00,0x47,0xd6,0xfa,0x04,0x0e,0x04,0x01,0x60,0x01,0xff]

v_add_lshl_u32_e64_dpp v5, v1, v2, v3 row_xmask:15
// GFX11: v_add_lshl_u32_e64_dpp v5, v1, v2, v3 row_xmask:15 row_mask:0xf bank_mask:0xf ; encoding: [0x05,0x00,0x47,0xd6,0xfa,0x04,0x0e,0x04,0x01,0x6f,0x01,0xff]

v_add_lshl_u32_e64_dpp v5, v1, v2, v3 quad_perm:[3,2,1,0] fi:0
// GFX11: v_add_lshl_u32_e64_dpp v5, v1, v2, v3 quad_perm:[3,2,1,0] row_mask:0xf bank_mask:0xf ; encoding: [0x05,0x00,0x47,0xd6,0xfa,0x04,0x0e,0x04,0x01,0x1b,0x00,0xff]

v_add_lshl_u32_e64_dpp v5, v1, v2, v3 quad_perm:[3,2,1,0] fi:1
// GFX11: v_add_lshl_u32_e64_dpp v5, v1, v2, v3 quad_perm:[3,2,1,0] row_mask:0xf bank_mask:0xf fi:1 ; encoding: [0x05,0x00,0x47,0xd6,0xfa,0x04,0x0e,0x04,0x01,0x1b,0x04,0xff]

v_add_lshl_u32_e64_dpp v5, v1, v2, v3 quad_perm:[3,2,1,0] row_mask:0x0 bank_mask:0x1
// GFX11: v_add_lshl_u32_e64_dpp v5, v1, v2, v3 quad_perm:[3,2,1,0] row_mask:0x0 bank_mask:0x1 ; encoding: [0x05,0x00,0x47,0xd6,0xfa,0x04,0x0e,0x04,0x01,0x1b,0x00,0x01]

v_add_lshl_u32_e64_dpp v5, v1, v2, v3 quad_perm:[3,2,1,0] row_mask:0x3 bank_mask:0x0
// GFX11: v_add_lshl_u32_e64_dpp v5, v1, v2, v3 quad_perm:[3,2,1,0] row_mask:0x3 bank_mask:0x0 ; encoding: [0x05,0x00,0x47,0xd6,0xfa,0x04,0x0e,0x04,0x01,0x1b,0x00,0x30]
	;; [unrolled: 3-line block ×3, first 2 shown]

v_add_nc_i16_e64_dpp v5.l, v1.l, v2.l quad_perm:[3,2,1,0]
// GFX11: v_add_nc_i16_e64_dpp v5.l, v1.l, v2.l quad_perm:[3,2,1,0] row_mask:0xf bank_mask:0xf ; encoding: [0x05,0x00,0x0d,0xd7,0xfa,0x04,0x02,0x00,0x01,0x1b,0x00,0xff]

v_add_nc_i16_e64_dpp v255.l, v255.l, v255.l quad_perm:[3,2,1,0]
// GFX11: v_add_nc_i16_e64_dpp v255.l, v255.l, v255.l quad_perm:[3,2,1,0] row_mask:0xf bank_mask:0xf ; encoding: [0xff,0x00,0x0d,0xd7,0xfa,0xfe,0x03,0x00,0xff,0x1b,0x00,0xff]

v_add_nc_i16_e64_dpp v5.l, v1.h, v2.l op_sel:[1,0,0] quad_perm:[3,2,1,0]
// GFX11: v_add_nc_i16_e64_dpp v5.l, v1.h, v2.l op_sel:[1,0,0] quad_perm:[3,2,1,0] row_mask:0xf bank_mask:0xf ; encoding: [0x05,0x08,0x0d,0xd7,0xfa,0x04,0x02,0x00,0x01,0x1b,0x00,0xff]

v_add_nc_i16_e64_dpp v5.l, v1.l, v2.h op_sel:[0,1,0] quad_perm:[3,2,1,0]
// GFX11: v_add_nc_i16_e64_dpp v5.l, v1.l, v2.h op_sel:[0,1,0] quad_perm:[3,2,1,0] row_mask:0xf bank_mask:0xf ; encoding: [0x05,0x10,0x0d,0xd7,0xfa,0x04,0x02,0x00,0x01,0x1b,0x00,0xff]

v_add_nc_i16_e64_dpp v5.l, v1.l, v2.l quad_perm:[3,2,1,0] bound_ctrl:0
// GFX11: v_add_nc_i16_e64_dpp v5.l, v1.l, v2.l quad_perm:[3,2,1,0] row_mask:0xf bank_mask:0xf ; encoding: [0x05,0x00,0x0d,0xd7,0xfa,0x04,0x02,0x00,0x01,0x1b,0x00,0xff]

v_add_nc_i16_e64_dpp v5.l, v1.l, v2.l quad_perm:[3,2,1,0] bound_ctrl:1
// GFX11: v_add_nc_i16_e64_dpp v5.l, v1.l, v2.l quad_perm:[3,2,1,0] row_mask:0xf bank_mask:0xf bound_ctrl:1 ; encoding: [0x05,0x00,0x0d,0xd7,0xfa,0x04,0x02,0x00,0x01,0x1b,0x08,0xff]

v_add_nc_i16_e64_dpp v5.l, v1.l, v2.l quad_perm:[0,1,2,3]
// GFX11: v_add_nc_i16_e64_dpp v5.l, v1.l, v2.l quad_perm:[0,1,2,3] row_mask:0xf bank_mask:0xf ; encoding: [0x05,0x00,0x0d,0xd7,0xfa,0x04,0x02,0x00,0x01,0xe4,0x00,0xff]

v_add_nc_i16_e64_dpp v5.l, v1.l, v2.l row_half_mirror
// GFX11: v_add_nc_i16_e64_dpp v5.l, v1.l, v2.l row_half_mirror row_mask:0xf bank_mask:0xf ; encoding: [0x05,0x00,0x0d,0xd7,0xfa,0x04,0x02,0x00,0x01,0x41,0x01,0xff]

v_add_nc_i16_e64_dpp v5.l, v1.l, v2.l row_mirror
// GFX11: v_add_nc_i16_e64_dpp v5.l, v1.l, v2.l row_mirror row_mask:0xf bank_mask:0xf ; encoding: [0x05,0x00,0x0d,0xd7,0xfa,0x04,0x02,0x00,0x01,0x40,0x01,0xff]

v_add_nc_i16_e64_dpp v5.l, v1.l, v2.l row_ror:1
// GFX11: v_add_nc_i16_e64_dpp v5.l, v1.l, v2.l row_ror:1 row_mask:0xf bank_mask:0xf ; encoding: [0x05,0x00,0x0d,0xd7,0xfa,0x04,0x02,0x00,0x01,0x21,0x01,0xff]

v_add_nc_i16_e64_dpp v5.l, v1.l, v2.l row_ror:15
// GFX11: v_add_nc_i16_e64_dpp v5.l, v1.l, v2.l row_ror:15 row_mask:0xf bank_mask:0xf ; encoding: [0x05,0x00,0x0d,0xd7,0xfa,0x04,0x02,0x00,0x01,0x2f,0x01,0xff]

v_add_nc_i16_e64_dpp v5.l, v1.l, v2.l row_share:0
// GFX11: v_add_nc_i16_e64_dpp v5.l, v1.l, v2.l row_share:0 row_mask:0xf bank_mask:0xf ; encoding: [0x05,0x00,0x0d,0xd7,0xfa,0x04,0x02,0x00,0x01,0x50,0x01,0xff]

v_add_nc_i16_e64_dpp v5.l, v1.l, v2.l row_share:15
// GFX11: v_add_nc_i16_e64_dpp v5.l, v1.l, v2.l row_share:15 row_mask:0xf bank_mask:0xf ; encoding: [0x05,0x00,0x0d,0xd7,0xfa,0x04,0x02,0x00,0x01,0x5f,0x01,0xff]

v_add_nc_i16_e64_dpp v5.l, v1.l, v2.l row_shl:1
// GFX11: v_add_nc_i16_e64_dpp v5.l, v1.l, v2.l row_shl:1 row_mask:0xf bank_mask:0xf ; encoding: [0x05,0x00,0x0d,0xd7,0xfa,0x04,0x02,0x00,0x01,0x01,0x01,0xff]

v_add_nc_i16_e64_dpp v5.l, v1.l, v2.l row_shl:15
// GFX11: v_add_nc_i16_e64_dpp v5.l, v1.l, v2.l row_shl:15 row_mask:0xf bank_mask:0xf ; encoding: [0x05,0x00,0x0d,0xd7,0xfa,0x04,0x02,0x00,0x01,0x0f,0x01,0xff]

v_add_nc_i16_e64_dpp v5.l, v1.l, v2.l row_shr:1
// GFX11: v_add_nc_i16_e64_dpp v5.l, v1.l, v2.l row_shr:1 row_mask:0xf bank_mask:0xf ; encoding: [0x05,0x00,0x0d,0xd7,0xfa,0x04,0x02,0x00,0x01,0x11,0x01,0xff]

v_add_nc_i16_e64_dpp v5.l, v1.l, v2.l row_shr:15
// GFX11: v_add_nc_i16_e64_dpp v5.l, v1.l, v2.l row_shr:15 row_mask:0xf bank_mask:0xf ; encoding: [0x05,0x00,0x0d,0xd7,0xfa,0x04,0x02,0x00,0x01,0x1f,0x01,0xff]

v_add_nc_i16_e64_dpp v5.l, v1.l, v2.l row_xmask:0
// GFX11: v_add_nc_i16_e64_dpp v5.l, v1.l, v2.l row_xmask:0 row_mask:0xf bank_mask:0xf ; encoding: [0x05,0x00,0x0d,0xd7,0xfa,0x04,0x02,0x00,0x01,0x60,0x01,0xff]

v_add_nc_i16_e64_dpp v5.l, v1.l, v2.l row_xmask:15
// GFX11: v_add_nc_i16_e64_dpp v5.l, v1.l, v2.l row_xmask:15 row_mask:0xf bank_mask:0xf ; encoding: [0x05,0x00,0x0d,0xd7,0xfa,0x04,0x02,0x00,0x01,0x6f,0x01,0xff]

v_add_nc_i16_e64_dpp v5.l, v1.l, v2.l quad_perm:[3,2,1,0] fi:0
// GFX11: v_add_nc_i16_e64_dpp v5.l, v1.l, v2.l quad_perm:[3,2,1,0] row_mask:0xf bank_mask:0xf ; encoding: [0x05,0x00,0x0d,0xd7,0xfa,0x04,0x02,0x00,0x01,0x1b,0x00,0xff]

v_add_nc_i16_e64_dpp v5.l, v1.l, v2.l quad_perm:[3,2,1,0] fi:1
// GFX11: v_add_nc_i16_e64_dpp v5.l, v1.l, v2.l quad_perm:[3,2,1,0] row_mask:0xf bank_mask:0xf fi:1 ; encoding: [0x05,0x00,0x0d,0xd7,0xfa,0x04,0x02,0x00,0x01,0x1b,0x04,0xff]

v_add_nc_i16_e64_dpp v5.l, v1.l, v2.l quad_perm:[3,2,1,0] row_mask:0x0 bank_mask:0x1
// GFX11: v_add_nc_i16_e64_dpp v5.l, v1.l, v2.l quad_perm:[3,2,1,0] row_mask:0x0 bank_mask:0x1 ; encoding: [0x05,0x00,0x0d,0xd7,0xfa,0x04,0x02,0x00,0x01,0x1b,0x00,0x01]

v_add_nc_i16_e64_dpp v5.l, v1.l, v2.l quad_perm:[3,2,1,0] row_mask:0x3 bank_mask:0x0
// GFX11: v_add_nc_i16_e64_dpp v5.l, v1.l, v2.l quad_perm:[3,2,1,0] row_mask:0x3 bank_mask:0x0 ; encoding: [0x05,0x00,0x0d,0xd7,0xfa,0x04,0x02,0x00,0x01,0x1b,0x00,0x30]
	;; [unrolled: 3-line block ×3, first 2 shown]

v_add_nc_i16_e64_dpp v5.l, v1.l, v2.l clamp quad_perm:[3,2,1,0]
// GFX11: v_add_nc_i16_e64_dpp v5.l, v1.l, v2.l clamp quad_perm:[3,2,1,0] row_mask:0xf bank_mask:0xf ; encoding: [0x05,0x80,0x0d,0xd7,0xfa,0x04,0x02,0x00,0x01,0x1b,0x00,0xff]

v_add_nc_i32_e64_dpp v5, v1, v2 quad_perm:[3,2,1,0]
// GFX11: v_add_nc_i32_e64_dpp v5, v1, v2 quad_perm:[3,2,1,0] row_mask:0xf bank_mask:0xf ; encoding: [0x05,0x00,0x26,0xd7,0xfa,0x04,0x02,0x00,0x01,0x1b,0x00,0xff]

v_add_nc_i32_e64_dpp v255, v255, v255 quad_perm:[3,2,1,0]
// GFX11: v_add_nc_i32_e64_dpp v255, v255, v255 quad_perm:[3,2,1,0] row_mask:0xf bank_mask:0xf ; encoding: [0xff,0x00,0x26,0xd7,0xfa,0xfe,0x03,0x00,0xff,0x1b,0x00,0xff]

v_add_nc_i32_e64_dpp v5, v1, v2 quad_perm:[3,2,1,0] bound_ctrl:0
// GFX11: v_add_nc_i32_e64_dpp v5, v1, v2 quad_perm:[3,2,1,0] row_mask:0xf bank_mask:0xf ; encoding: [0x05,0x00,0x26,0xd7,0xfa,0x04,0x02,0x00,0x01,0x1b,0x00,0xff]

v_add_nc_i32_e64_dpp v5, v1, v2 quad_perm:[3,2,1,0] bound_ctrl:1
// GFX11: v_add_nc_i32_e64_dpp v5, v1, v2 quad_perm:[3,2,1,0] row_mask:0xf bank_mask:0xf bound_ctrl:1 ; encoding: [0x05,0x00,0x26,0xd7,0xfa,0x04,0x02,0x00,0x01,0x1b,0x08,0xff]

v_add_nc_i32_e64_dpp v5, v1, v2 quad_perm:[0,1,2,3]
// GFX11: v_add_nc_i32_e64_dpp v5, v1, v2 quad_perm:[0,1,2,3] row_mask:0xf bank_mask:0xf ; encoding: [0x05,0x00,0x26,0xd7,0xfa,0x04,0x02,0x00,0x01,0xe4,0x00,0xff]

v_add_nc_i32_e64_dpp v5, v1, v2 row_half_mirror
// GFX11: v_add_nc_i32_e64_dpp v5, v1, v2 row_half_mirror row_mask:0xf bank_mask:0xf ; encoding: [0x05,0x00,0x26,0xd7,0xfa,0x04,0x02,0x00,0x01,0x41,0x01,0xff]

v_add_nc_i32_e64_dpp v5, v1, v2 row_mirror
// GFX11: v_add_nc_i32_e64_dpp v5, v1, v2 row_mirror row_mask:0xf bank_mask:0xf ; encoding: [0x05,0x00,0x26,0xd7,0xfa,0x04,0x02,0x00,0x01,0x40,0x01,0xff]

v_add_nc_i32_e64_dpp v5, v1, v2 row_ror:1
// GFX11: v_add_nc_i32_e64_dpp v5, v1, v2 row_ror:1 row_mask:0xf bank_mask:0xf ; encoding: [0x05,0x00,0x26,0xd7,0xfa,0x04,0x02,0x00,0x01,0x21,0x01,0xff]

v_add_nc_i32_e64_dpp v5, v1, v2 row_ror:15
// GFX11: v_add_nc_i32_e64_dpp v5, v1, v2 row_ror:15 row_mask:0xf bank_mask:0xf ; encoding: [0x05,0x00,0x26,0xd7,0xfa,0x04,0x02,0x00,0x01,0x2f,0x01,0xff]

v_add_nc_i32_e64_dpp v5, v1, v2 row_share:0
// GFX11: v_add_nc_i32_e64_dpp v5, v1, v2 row_share:0 row_mask:0xf bank_mask:0xf ; encoding: [0x05,0x00,0x26,0xd7,0xfa,0x04,0x02,0x00,0x01,0x50,0x01,0xff]

v_add_nc_i32_e64_dpp v5, v1, v2 row_share:15
// GFX11: v_add_nc_i32_e64_dpp v5, v1, v2 row_share:15 row_mask:0xf bank_mask:0xf ; encoding: [0x05,0x00,0x26,0xd7,0xfa,0x04,0x02,0x00,0x01,0x5f,0x01,0xff]

v_add_nc_i32_e64_dpp v5, v1, v2 row_shl:1
// GFX11: v_add_nc_i32_e64_dpp v5, v1, v2 row_shl:1 row_mask:0xf bank_mask:0xf ; encoding: [0x05,0x00,0x26,0xd7,0xfa,0x04,0x02,0x00,0x01,0x01,0x01,0xff]

v_add_nc_i32_e64_dpp v5, v1, v2 row_shl:15
// GFX11: v_add_nc_i32_e64_dpp v5, v1, v2 row_shl:15 row_mask:0xf bank_mask:0xf ; encoding: [0x05,0x00,0x26,0xd7,0xfa,0x04,0x02,0x00,0x01,0x0f,0x01,0xff]

v_add_nc_i32_e64_dpp v5, v1, v2 row_shr:1
// GFX11: v_add_nc_i32_e64_dpp v5, v1, v2 row_shr:1 row_mask:0xf bank_mask:0xf ; encoding: [0x05,0x00,0x26,0xd7,0xfa,0x04,0x02,0x00,0x01,0x11,0x01,0xff]

v_add_nc_i32_e64_dpp v5, v1, v2 row_shr:15
// GFX11: v_add_nc_i32_e64_dpp v5, v1, v2 row_shr:15 row_mask:0xf bank_mask:0xf ; encoding: [0x05,0x00,0x26,0xd7,0xfa,0x04,0x02,0x00,0x01,0x1f,0x01,0xff]

v_add_nc_i32_e64_dpp v5, v1, v2 row_xmask:0
// GFX11: v_add_nc_i32_e64_dpp v5, v1, v2 row_xmask:0 row_mask:0xf bank_mask:0xf ; encoding: [0x05,0x00,0x26,0xd7,0xfa,0x04,0x02,0x00,0x01,0x60,0x01,0xff]

v_add_nc_i32_e64_dpp v5, v1, v2 row_xmask:15
// GFX11: v_add_nc_i32_e64_dpp v5, v1, v2 row_xmask:15 row_mask:0xf bank_mask:0xf ; encoding: [0x05,0x00,0x26,0xd7,0xfa,0x04,0x02,0x00,0x01,0x6f,0x01,0xff]

v_add_nc_i32_e64_dpp v5, v1, v2 quad_perm:[3,2,1,0] fi:0
// GFX11: v_add_nc_i32_e64_dpp v5, v1, v2 quad_perm:[3,2,1,0] row_mask:0xf bank_mask:0xf ; encoding: [0x05,0x00,0x26,0xd7,0xfa,0x04,0x02,0x00,0x01,0x1b,0x00,0xff]

v_add_nc_i32_e64_dpp v5, v1, v2 quad_perm:[3,2,1,0] fi:1
// GFX11: v_add_nc_i32_e64_dpp v5, v1, v2 quad_perm:[3,2,1,0] row_mask:0xf bank_mask:0xf fi:1 ; encoding: [0x05,0x00,0x26,0xd7,0xfa,0x04,0x02,0x00,0x01,0x1b,0x04,0xff]

v_add_nc_i32_e64_dpp v5, v1, v2 quad_perm:[3,2,1,0] row_mask:0x0 bank_mask:0x1
// GFX11: v_add_nc_i32_e64_dpp v5, v1, v2 quad_perm:[3,2,1,0] row_mask:0x0 bank_mask:0x1 ; encoding: [0x05,0x00,0x26,0xd7,0xfa,0x04,0x02,0x00,0x01,0x1b,0x00,0x01]

v_add_nc_i32_e64_dpp v5, v1, v2 quad_perm:[3,2,1,0] row_mask:0x3 bank_mask:0x0
// GFX11: v_add_nc_i32_e64_dpp v5, v1, v2 quad_perm:[3,2,1,0] row_mask:0x3 bank_mask:0x0 ; encoding: [0x05,0x00,0x26,0xd7,0xfa,0x04,0x02,0x00,0x01,0x1b,0x00,0x30]

v_add_nc_i32_e64_dpp v5, v1, v2 quad_perm:[3,2,1,0] row_mask:0xf bank_mask:0xf
// GFX11: v_add_nc_i32_e64_dpp v5, v1, v2 quad_perm:[3,2,1,0] row_mask:0xf bank_mask:0xf ; encoding: [0x05,0x00,0x26,0xd7,0xfa,0x04,0x02,0x00,0x01,0x1b,0x00,0xff]

v_add_nc_i32_e64_dpp v5, v1, v2 clamp quad_perm:[3,2,1,0]
// GFX11: v_add_nc_i32_e64_dpp v5, v1, v2 clamp quad_perm:[3,2,1,0] row_mask:0xf bank_mask:0xf ; encoding: [0x05,0x80,0x26,0xd7,0xfa,0x04,0x02,0x00,0x01,0x1b,0x00,0xff]

v_add_nc_u16_e64_dpp v5.l, v1.l, v2.l quad_perm:[3,2,1,0]
// GFX11: v_add_nc_u16_e64_dpp v5.l, v1.l, v2.l quad_perm:[3,2,1,0] row_mask:0xf bank_mask:0xf ; encoding: [0x05,0x00,0x03,0xd7,0xfa,0x04,0x02,0x00,0x01,0x1b,0x00,0xff]

v_add_nc_u16_e64_dpp v255.l, v255.l, v255.l quad_perm:[3,2,1,0]
// GFX11: v_add_nc_u16_e64_dpp v255.l, v255.l, v255.l quad_perm:[3,2,1,0] row_mask:0xf bank_mask:0xf ; encoding: [0xff,0x00,0x03,0xd7,0xfa,0xfe,0x03,0x00,0xff,0x1b,0x00,0xff]

v_add_nc_u16_e64_dpp v5.l, v1.h, v2.l op_sel:[1,0,0] quad_perm:[3,2,1,0]
// GFX11: v_add_nc_u16_e64_dpp v5.l, v1.h, v2.l op_sel:[1,0,0] quad_perm:[3,2,1,0] row_mask:0xf bank_mask:0xf ; encoding: [0x05,0x08,0x03,0xd7,0xfa,0x04,0x02,0x00,0x01,0x1b,0x00,0xff]

v_add_nc_u16_e64_dpp v5.l, v1.l, v2.h op_sel:[0,1,0] quad_perm:[3,2,1,0]
// GFX11: v_add_nc_u16_e64_dpp v5.l, v1.l, v2.h op_sel:[0,1,0] quad_perm:[3,2,1,0] row_mask:0xf bank_mask:0xf ; encoding: [0x05,0x10,0x03,0xd7,0xfa,0x04,0x02,0x00,0x01,0x1b,0x00,0xff]

v_add_nc_u16_e64_dpp v5.l, v1.l, v2.l quad_perm:[3,2,1,0] bound_ctrl:0
// GFX11: v_add_nc_u16_e64_dpp v5.l, v1.l, v2.l quad_perm:[3,2,1,0] row_mask:0xf bank_mask:0xf ; encoding: [0x05,0x00,0x03,0xd7,0xfa,0x04,0x02,0x00,0x01,0x1b,0x00,0xff]

v_add_nc_u16_e64_dpp v5.l, v1.l, v2.l quad_perm:[3,2,1,0] bound_ctrl:1
// GFX11: v_add_nc_u16_e64_dpp v5.l, v1.l, v2.l quad_perm:[3,2,1,0] row_mask:0xf bank_mask:0xf bound_ctrl:1 ; encoding: [0x05,0x00,0x03,0xd7,0xfa,0x04,0x02,0x00,0x01,0x1b,0x08,0xff]

v_add_nc_u16_e64_dpp v5.l, v1.l, v2.l quad_perm:[0,1,2,3]
// GFX11: v_add_nc_u16_e64_dpp v5.l, v1.l, v2.l quad_perm:[0,1,2,3] row_mask:0xf bank_mask:0xf ; encoding: [0x05,0x00,0x03,0xd7,0xfa,0x04,0x02,0x00,0x01,0xe4,0x00,0xff]

v_add_nc_u16_e64_dpp v5.l, v1.l, v2.l row_half_mirror
// GFX11: v_add_nc_u16_e64_dpp v5.l, v1.l, v2.l row_half_mirror row_mask:0xf bank_mask:0xf ; encoding: [0x05,0x00,0x03,0xd7,0xfa,0x04,0x02,0x00,0x01,0x41,0x01,0xff]

v_add_nc_u16_e64_dpp v5.l, v1.l, v2.l row_mirror
// GFX11: v_add_nc_u16_e64_dpp v5.l, v1.l, v2.l row_mirror row_mask:0xf bank_mask:0xf ; encoding: [0x05,0x00,0x03,0xd7,0xfa,0x04,0x02,0x00,0x01,0x40,0x01,0xff]

v_add_nc_u16_e64_dpp v5.l, v1.l, v2.l row_ror:1
// GFX11: v_add_nc_u16_e64_dpp v5.l, v1.l, v2.l row_ror:1 row_mask:0xf bank_mask:0xf ; encoding: [0x05,0x00,0x03,0xd7,0xfa,0x04,0x02,0x00,0x01,0x21,0x01,0xff]

v_add_nc_u16_e64_dpp v5.l, v1.l, v2.l row_ror:15
// GFX11: v_add_nc_u16_e64_dpp v5.l, v1.l, v2.l row_ror:15 row_mask:0xf bank_mask:0xf ; encoding: [0x05,0x00,0x03,0xd7,0xfa,0x04,0x02,0x00,0x01,0x2f,0x01,0xff]

v_add_nc_u16_e64_dpp v5.l, v1.l, v2.l row_share:0
// GFX11: v_add_nc_u16_e64_dpp v5.l, v1.l, v2.l row_share:0 row_mask:0xf bank_mask:0xf ; encoding: [0x05,0x00,0x03,0xd7,0xfa,0x04,0x02,0x00,0x01,0x50,0x01,0xff]

v_add_nc_u16_e64_dpp v5.l, v1.l, v2.l row_share:15
// GFX11: v_add_nc_u16_e64_dpp v5.l, v1.l, v2.l row_share:15 row_mask:0xf bank_mask:0xf ; encoding: [0x05,0x00,0x03,0xd7,0xfa,0x04,0x02,0x00,0x01,0x5f,0x01,0xff]

v_add_nc_u16_e64_dpp v5.l, v1.l, v2.l row_shl:1
// GFX11: v_add_nc_u16_e64_dpp v5.l, v1.l, v2.l row_shl:1 row_mask:0xf bank_mask:0xf ; encoding: [0x05,0x00,0x03,0xd7,0xfa,0x04,0x02,0x00,0x01,0x01,0x01,0xff]

v_add_nc_u16_e64_dpp v5.l, v1.l, v2.l row_shl:15
// GFX11: v_add_nc_u16_e64_dpp v5.l, v1.l, v2.l row_shl:15 row_mask:0xf bank_mask:0xf ; encoding: [0x05,0x00,0x03,0xd7,0xfa,0x04,0x02,0x00,0x01,0x0f,0x01,0xff]

v_add_nc_u16_e64_dpp v5.l, v1.l, v2.l row_shr:1
// GFX11: v_add_nc_u16_e64_dpp v5.l, v1.l, v2.l row_shr:1 row_mask:0xf bank_mask:0xf ; encoding: [0x05,0x00,0x03,0xd7,0xfa,0x04,0x02,0x00,0x01,0x11,0x01,0xff]

v_add_nc_u16_e64_dpp v5.l, v1.l, v2.l row_shr:15
// GFX11: v_add_nc_u16_e64_dpp v5.l, v1.l, v2.l row_shr:15 row_mask:0xf bank_mask:0xf ; encoding: [0x05,0x00,0x03,0xd7,0xfa,0x04,0x02,0x00,0x01,0x1f,0x01,0xff]

v_add_nc_u16_e64_dpp v5.l, v1.l, v2.l row_xmask:0
// GFX11: v_add_nc_u16_e64_dpp v5.l, v1.l, v2.l row_xmask:0 row_mask:0xf bank_mask:0xf ; encoding: [0x05,0x00,0x03,0xd7,0xfa,0x04,0x02,0x00,0x01,0x60,0x01,0xff]

v_add_nc_u16_e64_dpp v5.l, v1.l, v2.l row_xmask:15
// GFX11: v_add_nc_u16_e64_dpp v5.l, v1.l, v2.l row_xmask:15 row_mask:0xf bank_mask:0xf ; encoding: [0x05,0x00,0x03,0xd7,0xfa,0x04,0x02,0x00,0x01,0x6f,0x01,0xff]

v_add_nc_u16_e64_dpp v5.l, v1.l, v2.l quad_perm:[3,2,1,0] fi:0
// GFX11: v_add_nc_u16_e64_dpp v5.l, v1.l, v2.l quad_perm:[3,2,1,0] row_mask:0xf bank_mask:0xf ; encoding: [0x05,0x00,0x03,0xd7,0xfa,0x04,0x02,0x00,0x01,0x1b,0x00,0xff]

v_add_nc_u16_e64_dpp v5.l, v1.l, v2.l quad_perm:[3,2,1,0] fi:1
// GFX11: v_add_nc_u16_e64_dpp v5.l, v1.l, v2.l quad_perm:[3,2,1,0] row_mask:0xf bank_mask:0xf fi:1 ; encoding: [0x05,0x00,0x03,0xd7,0xfa,0x04,0x02,0x00,0x01,0x1b,0x04,0xff]

v_add_nc_u16_e64_dpp v5.l, v1.l, v2.l quad_perm:[3,2,1,0] row_mask:0x0 bank_mask:0x1
// GFX11: v_add_nc_u16_e64_dpp v5.l, v1.l, v2.l quad_perm:[3,2,1,0] row_mask:0x0 bank_mask:0x1 ; encoding: [0x05,0x00,0x03,0xd7,0xfa,0x04,0x02,0x00,0x01,0x1b,0x00,0x01]

v_add_nc_u16_e64_dpp v5.l, v1.l, v2.l quad_perm:[3,2,1,0] row_mask:0x3 bank_mask:0x0
// GFX11: v_add_nc_u16_e64_dpp v5.l, v1.l, v2.l quad_perm:[3,2,1,0] row_mask:0x3 bank_mask:0x0 ; encoding: [0x05,0x00,0x03,0xd7,0xfa,0x04,0x02,0x00,0x01,0x1b,0x00,0x30]
	;; [unrolled: 3-line block ×3, first 2 shown]

v_add_nc_u16_e64_dpp v5.l, v1.l, v2.l clamp quad_perm:[3,2,1,0]
// GFX11: v_add_nc_u16_e64_dpp v5.l, v1.l, v2.l clamp quad_perm:[3,2,1,0] row_mask:0xf bank_mask:0xf ; encoding: [0x05,0x80,0x03,0xd7,0xfa,0x04,0x02,0x00,0x01,0x1b,0x00,0xff]

v_alignbit_b32_e64_dpp v5, v1, v2, v3.l quad_perm:[3,2,1,0]
// GFX11: v_alignbit_b32_e64_dpp v5, v1, v2, v3.l quad_perm:[3,2,1,0] row_mask:0xf bank_mask:0xf ; encoding: [0x05,0x00,0x16,0xd6,0xfa,0x04,0x0e,0x04,0x01,0x1b,0x00,0xff]

v_alignbit_b32_e64_dpp v255, v255, v255, v255.l quad_perm:[3,2,1,0]
// GFX11: v_alignbit_b32_e64_dpp v255, v255, v255, v255.l quad_perm:[3,2,1,0] row_mask:0xf bank_mask:0xf ; encoding: [0xff,0x00,0x16,0xd6,0xfa,0xfe,0xff,0x07,0xff,0x1b,0x00,0xff]

v_alignbit_b32_e64_dpp v5, v1, v2, -1 quad_perm:[3,2,1,0]
// GFX11: v_alignbit_b32_e64_dpp v5, v1, v2, -1 quad_perm:[3,2,1,0] row_mask:0xf bank_mask:0xf ; encoding: [0x05,0x00,0x16,0xd6,0xfa,0x04,0x06,0x03,0x01,0x1b,0x00,0xff]

v_alignbit_b32_e64_dpp v5, v1, v2, 0.5 quad_perm:[3,2,1,0]
// GFX11: v_alignbit_b32_e64_dpp v5, v1, v2, 0.5 quad_perm:[3,2,1,0] row_mask:0xf bank_mask:0xf ; encoding: [0x05,0x00,0x16,0xd6,0xfa,0x04,0xc2,0x03,0x01,0x1b,0x00,0xff]

v_alignbit_b32_e64_dpp v5, v1, v2, exec_hi quad_perm:[3,2,1,0]
// GFX11: v_alignbit_b32_e64_dpp v5, v1, v2, exec_hi quad_perm:[3,2,1,0] row_mask:0xf bank_mask:0xf ; encoding: [0x05,0x00,0x16,0xd6,0xfa,0x04,0xfe,0x01,0x01,0x1b,0x00,0xff]

v_alignbit_b32_e64_dpp v5, v1, v2, exec_lo quad_perm:[3,2,1,0]
// GFX11: v_alignbit_b32_e64_dpp v5, v1, v2, exec_lo quad_perm:[3,2,1,0] row_mask:0xf bank_mask:0xf ; encoding: [0x05,0x00,0x16,0xd6,0xfa,0x04,0xfa,0x01,0x01,0x1b,0x00,0xff]

v_alignbit_b32_e64_dpp v5, v1, v2, m0 quad_perm:[3,2,1,0]
// GFX11: v_alignbit_b32_e64_dpp v5, v1, v2, m0 quad_perm:[3,2,1,0] row_mask:0xf bank_mask:0xf ; encoding: [0x05,0x00,0x16,0xd6,0xfa,0x04,0xf6,0x01,0x01,0x1b,0x00,0xff]

v_alignbit_b32_e64_dpp v5, v1, v2, null quad_perm:[3,2,1,0]
// GFX11: v_alignbit_b32_e64_dpp v5, v1, v2, null quad_perm:[3,2,1,0] row_mask:0xf bank_mask:0xf ; encoding: [0x05,0x00,0x16,0xd6,0xfa,0x04,0xf2,0x01,0x01,0x1b,0x00,0xff]

v_alignbit_b32_e64_dpp v5, v1, v2, s105 quad_perm:[3,2,1,0]
// GFX11: v_alignbit_b32_e64_dpp v5, v1, v2, s105 quad_perm:[3,2,1,0] row_mask:0xf bank_mask:0xf ; encoding: [0x05,0x00,0x16,0xd6,0xfa,0x04,0xa6,0x01,0x01,0x1b,0x00,0xff]

v_alignbit_b32_e64_dpp v5, v1, v2, s3 quad_perm:[3,2,1,0]
// GFX11: v_alignbit_b32_e64_dpp v5, v1, v2, s3 quad_perm:[3,2,1,0] row_mask:0xf bank_mask:0xf ; encoding: [0x05,0x00,0x16,0xd6,0xfa,0x04,0x0e,0x00,0x01,0x1b,0x00,0xff]

v_alignbit_b32_e64_dpp v5, v1, v2, src_scc quad_perm:[3,2,1,0]
// GFX11: v_alignbit_b32_e64_dpp v5, v1, v2, src_scc quad_perm:[3,2,1,0] row_mask:0xf bank_mask:0xf ; encoding: [0x05,0x00,0x16,0xd6,0xfa,0x04,0xf6,0x03,0x01,0x1b,0x00,0xff]

v_alignbit_b32_e64_dpp v5, v1, v2, ttmp15 quad_perm:[3,2,1,0]
// GFX11: v_alignbit_b32_e64_dpp v5, v1, v2, ttmp15 quad_perm:[3,2,1,0] row_mask:0xf bank_mask:0xf ; encoding: [0x05,0x00,0x16,0xd6,0xfa,0x04,0xee,0x01,0x01,0x1b,0x00,0xff]

v_alignbit_b32_e64_dpp v5, v1, v2, v255.h quad_perm:[3,2,1,0]
// GFX11: v_alignbit_b32_e64_dpp v5, v1, v2, v255.h op_sel:[0,0,1,0] quad_perm:[3,2,1,0] row_mask:0xf bank_mask:0xf ; encoding: [0x05,0x20,0x16,0xd6,0xfa,0x04,0xfe,0x07,0x01,0x1b,0x00,0xff]

v_alignbit_b32_e64_dpp v5, v1, v2, v255.l quad_perm:[3,2,1,0]
// GFX11: v_alignbit_b32_e64_dpp v5, v1, v2, v255.l quad_perm:[3,2,1,0] row_mask:0xf bank_mask:0xf ; encoding: [0x05,0x00,0x16,0xd6,0xfa,0x04,0xfe,0x07,0x01,0x1b,0x00,0xff]

v_alignbit_b32_e64_dpp v5, v1, v2, v3.h quad_perm:[3,2,1,0]
// GFX11: v_alignbit_b32_e64_dpp v5, v1, v2, v3.h op_sel:[0,0,1,0] quad_perm:[3,2,1,0] row_mask:0xf bank_mask:0xf ; encoding: [0x05,0x20,0x16,0xd6,0xfa,0x04,0x0e,0x04,0x01,0x1b,0x00,0xff]

v_alignbit_b32_e64_dpp v5, v1, v2, vcc_hi quad_perm:[3,2,1,0]
// GFX11: v_alignbit_b32_e64_dpp v5, v1, v2, vcc_hi quad_perm:[3,2,1,0] row_mask:0xf bank_mask:0xf ; encoding: [0x05,0x00,0x16,0xd6,0xfa,0x04,0xae,0x01,0x01,0x1b,0x00,0xff]

v_alignbit_b32_e64_dpp v5, v1, v2, vcc_lo quad_perm:[3,2,1,0]
// GFX11: v_alignbit_b32_e64_dpp v5, v1, v2, vcc_lo quad_perm:[3,2,1,0] row_mask:0xf bank_mask:0xf ; encoding: [0x05,0x00,0x16,0xd6,0xfa,0x04,0xaa,0x01,0x01,0x1b,0x00,0xff]

v_alignbit_b32_e64_dpp v5, v1, v2, v3.h op_sel:[0,0,1,0] quad_perm:[3,2,1,0]
// GFX11: v_alignbit_b32_e64_dpp v5, v1, v2, v3.h op_sel:[0,0,1,0] quad_perm:[3,2,1,0] row_mask:0xf bank_mask:0xf ; encoding: [0x05,0x20,0x16,0xd6,0xfa,0x04,0x0e,0x04,0x01,0x1b,0x00,0xff]

v_alignbit_b32_e64_dpp v5, v1, v2, v3.l quad_perm:[3,2,1,0] bound_ctrl:0
// GFX11: v_alignbit_b32_e64_dpp v5, v1, v2, v3.l quad_perm:[3,2,1,0] row_mask:0xf bank_mask:0xf ; encoding: [0x05,0x00,0x16,0xd6,0xfa,0x04,0x0e,0x04,0x01,0x1b,0x00,0xff]

v_alignbit_b32_e64_dpp v5, v1, v2, v3.l quad_perm:[3,2,1,0] bound_ctrl:1
// GFX11: v_alignbit_b32_e64_dpp v5, v1, v2, v3.l quad_perm:[3,2,1,0] row_mask:0xf bank_mask:0xf bound_ctrl:1 ; encoding: [0x05,0x00,0x16,0xd6,0xfa,0x04,0x0e,0x04,0x01,0x1b,0x08,0xff]

v_alignbit_b32_e64_dpp v5, v1, v2, v3.l quad_perm:[0,1,2,3]
// GFX11: v_alignbit_b32_e64_dpp v5, v1, v2, v3.l quad_perm:[0,1,2,3] row_mask:0xf bank_mask:0xf ; encoding: [0x05,0x00,0x16,0xd6,0xfa,0x04,0x0e,0x04,0x01,0xe4,0x00,0xff]

v_alignbit_b32_e64_dpp v5, v1, v2, v3.l row_half_mirror
// GFX11: v_alignbit_b32_e64_dpp v5, v1, v2, v3.l row_half_mirror row_mask:0xf bank_mask:0xf ; encoding: [0x05,0x00,0x16,0xd6,0xfa,0x04,0x0e,0x04,0x01,0x41,0x01,0xff]

v_alignbit_b32_e64_dpp v5, v1, v2, v3.l row_mirror
// GFX11: v_alignbit_b32_e64_dpp v5, v1, v2, v3.l row_mirror row_mask:0xf bank_mask:0xf ; encoding: [0x05,0x00,0x16,0xd6,0xfa,0x04,0x0e,0x04,0x01,0x40,0x01,0xff]

v_alignbit_b32_e64_dpp v5, v1, v2, v3.l row_ror:1
// GFX11: v_alignbit_b32_e64_dpp v5, v1, v2, v3.l row_ror:1 row_mask:0xf bank_mask:0xf ; encoding: [0x05,0x00,0x16,0xd6,0xfa,0x04,0x0e,0x04,0x01,0x21,0x01,0xff]

v_alignbit_b32_e64_dpp v5, v1, v2, v3.l row_ror:15
// GFX11: v_alignbit_b32_e64_dpp v5, v1, v2, v3.l row_ror:15 row_mask:0xf bank_mask:0xf ; encoding: [0x05,0x00,0x16,0xd6,0xfa,0x04,0x0e,0x04,0x01,0x2f,0x01,0xff]

v_alignbit_b32_e64_dpp v5, v1, v2, v3.l row_share:0
// GFX11: v_alignbit_b32_e64_dpp v5, v1, v2, v3.l row_share:0 row_mask:0xf bank_mask:0xf ; encoding: [0x05,0x00,0x16,0xd6,0xfa,0x04,0x0e,0x04,0x01,0x50,0x01,0xff]

v_alignbit_b32_e64_dpp v5, v1, v2, v3.l row_share:15
// GFX11: v_alignbit_b32_e64_dpp v5, v1, v2, v3.l row_share:15 row_mask:0xf bank_mask:0xf ; encoding: [0x05,0x00,0x16,0xd6,0xfa,0x04,0x0e,0x04,0x01,0x5f,0x01,0xff]

v_alignbit_b32_e64_dpp v5, v1, v2, v3.l row_shl:1
// GFX11: v_alignbit_b32_e64_dpp v5, v1, v2, v3.l row_shl:1 row_mask:0xf bank_mask:0xf ; encoding: [0x05,0x00,0x16,0xd6,0xfa,0x04,0x0e,0x04,0x01,0x01,0x01,0xff]

v_alignbit_b32_e64_dpp v5, v1, v2, v3.l row_shl:15
// GFX11: v_alignbit_b32_e64_dpp v5, v1, v2, v3.l row_shl:15 row_mask:0xf bank_mask:0xf ; encoding: [0x05,0x00,0x16,0xd6,0xfa,0x04,0x0e,0x04,0x01,0x0f,0x01,0xff]

v_alignbit_b32_e64_dpp v5, v1, v2, v3.l row_shr:1
// GFX11: v_alignbit_b32_e64_dpp v5, v1, v2, v3.l row_shr:1 row_mask:0xf bank_mask:0xf ; encoding: [0x05,0x00,0x16,0xd6,0xfa,0x04,0x0e,0x04,0x01,0x11,0x01,0xff]

v_alignbit_b32_e64_dpp v5, v1, v2, v3.l row_shr:15
// GFX11: v_alignbit_b32_e64_dpp v5, v1, v2, v3.l row_shr:15 row_mask:0xf bank_mask:0xf ; encoding: [0x05,0x00,0x16,0xd6,0xfa,0x04,0x0e,0x04,0x01,0x1f,0x01,0xff]

v_alignbit_b32_e64_dpp v5, v1, v2, v3.l row_xmask:0
// GFX11: v_alignbit_b32_e64_dpp v5, v1, v2, v3.l row_xmask:0 row_mask:0xf bank_mask:0xf ; encoding: [0x05,0x00,0x16,0xd6,0xfa,0x04,0x0e,0x04,0x01,0x60,0x01,0xff]

v_alignbit_b32_e64_dpp v5, v1, v2, v3.l row_xmask:15
// GFX11: v_alignbit_b32_e64_dpp v5, v1, v2, v3.l row_xmask:15 row_mask:0xf bank_mask:0xf ; encoding: [0x05,0x00,0x16,0xd6,0xfa,0x04,0x0e,0x04,0x01,0x6f,0x01,0xff]

v_alignbit_b32_e64_dpp v5, v1, v2, v3.l quad_perm:[3,2,1,0] fi:0
// GFX11: v_alignbit_b32_e64_dpp v5, v1, v2, v3.l quad_perm:[3,2,1,0] row_mask:0xf bank_mask:0xf ; encoding: [0x05,0x00,0x16,0xd6,0xfa,0x04,0x0e,0x04,0x01,0x1b,0x00,0xff]

v_alignbit_b32_e64_dpp v5, v1, v2, v3.l quad_perm:[3,2,1,0] fi:1
// GFX11: v_alignbit_b32_e64_dpp v5, v1, v2, v3.l quad_perm:[3,2,1,0] row_mask:0xf bank_mask:0xf fi:1 ; encoding: [0x05,0x00,0x16,0xd6,0xfa,0x04,0x0e,0x04,0x01,0x1b,0x04,0xff]

v_alignbit_b32_e64_dpp v5, v1, v2, v3.l quad_perm:[3,2,1,0] row_mask:0x0 bank_mask:0x1
// GFX11: v_alignbit_b32_e64_dpp v5, v1, v2, v3.l quad_perm:[3,2,1,0] row_mask:0x0 bank_mask:0x1 ; encoding: [0x05,0x00,0x16,0xd6,0xfa,0x04,0x0e,0x04,0x01,0x1b,0x00,0x01]

v_alignbit_b32_e64_dpp v5, v1, v2, v3.l quad_perm:[3,2,1,0] row_mask:0x3 bank_mask:0x0
// GFX11: v_alignbit_b32_e64_dpp v5, v1, v2, v3.l quad_perm:[3,2,1,0] row_mask:0x3 bank_mask:0x0 ; encoding: [0x05,0x00,0x16,0xd6,0xfa,0x04,0x0e,0x04,0x01,0x1b,0x00,0x30]
	;; [unrolled: 3-line block ×3, first 2 shown]

v_alignbit_b32_e64_dpp v5, v1, v2, v3.l clamp quad_perm:[3,2,1,0]
// GFX11: v_alignbit_b32_e64_dpp v5, v1, v2, v3.l clamp quad_perm:[3,2,1,0] row_mask:0xf bank_mask:0xf ; encoding: [0x05,0x80,0x16,0xd6,0xfa,0x04,0x0e,0x04,0x01,0x1b,0x00,0xff]

v_alignbyte_b32_e64_dpp v5, v1, v2, v3.l quad_perm:[3,2,1,0]
// GFX11: v_alignbyte_b32_e64_dpp v5, v1, v2, v3.l quad_perm:[3,2,1,0] row_mask:0xf bank_mask:0xf ; encoding: [0x05,0x00,0x17,0xd6,0xfa,0x04,0x0e,0x04,0x01,0x1b,0x00,0xff]

v_alignbyte_b32_e64_dpp v255, v255, v255, v255.l quad_perm:[3,2,1,0]
// GFX11: v_alignbyte_b32_e64_dpp v255, v255, v255, v255.l quad_perm:[3,2,1,0] row_mask:0xf bank_mask:0xf ; encoding: [0xff,0x00,0x17,0xd6,0xfa,0xfe,0xff,0x07,0xff,0x1b,0x00,0xff]

v_alignbyte_b32_e64_dpp v5, v1, v2, -1 quad_perm:[3,2,1,0]
// GFX11: v_alignbyte_b32_e64_dpp v5, v1, v2, -1 quad_perm:[3,2,1,0] row_mask:0xf bank_mask:0xf ; encoding: [0x05,0x00,0x17,0xd6,0xfa,0x04,0x06,0x03,0x01,0x1b,0x00,0xff]

v_alignbyte_b32_e64_dpp v5, v1, v2, 0.5 quad_perm:[3,2,1,0]
// GFX11: v_alignbyte_b32_e64_dpp v5, v1, v2, 0.5 quad_perm:[3,2,1,0] row_mask:0xf bank_mask:0xf ; encoding: [0x05,0x00,0x17,0xd6,0xfa,0x04,0xc2,0x03,0x01,0x1b,0x00,0xff]

v_alignbyte_b32_e64_dpp v5, v1, v2, exec_hi quad_perm:[3,2,1,0]
// GFX11: v_alignbyte_b32_e64_dpp v5, v1, v2, exec_hi quad_perm:[3,2,1,0] row_mask:0xf bank_mask:0xf ; encoding: [0x05,0x00,0x17,0xd6,0xfa,0x04,0xfe,0x01,0x01,0x1b,0x00,0xff]

v_alignbyte_b32_e64_dpp v5, v1, v2, exec_lo quad_perm:[3,2,1,0]
// GFX11: v_alignbyte_b32_e64_dpp v5, v1, v2, exec_lo quad_perm:[3,2,1,0] row_mask:0xf bank_mask:0xf ; encoding: [0x05,0x00,0x17,0xd6,0xfa,0x04,0xfa,0x01,0x01,0x1b,0x00,0xff]

v_alignbyte_b32_e64_dpp v5, v1, v2, m0 quad_perm:[3,2,1,0]
// GFX11: v_alignbyte_b32_e64_dpp v5, v1, v2, m0 quad_perm:[3,2,1,0] row_mask:0xf bank_mask:0xf ; encoding: [0x05,0x00,0x17,0xd6,0xfa,0x04,0xf6,0x01,0x01,0x1b,0x00,0xff]

v_alignbyte_b32_e64_dpp v5, v1, v2, null quad_perm:[3,2,1,0]
// GFX11: v_alignbyte_b32_e64_dpp v5, v1, v2, null quad_perm:[3,2,1,0] row_mask:0xf bank_mask:0xf ; encoding: [0x05,0x00,0x17,0xd6,0xfa,0x04,0xf2,0x01,0x01,0x1b,0x00,0xff]

v_alignbyte_b32_e64_dpp v5, v1, v2, s105 quad_perm:[3,2,1,0]
// GFX11: v_alignbyte_b32_e64_dpp v5, v1, v2, s105 quad_perm:[3,2,1,0] row_mask:0xf bank_mask:0xf ; encoding: [0x05,0x00,0x17,0xd6,0xfa,0x04,0xa6,0x01,0x01,0x1b,0x00,0xff]

v_alignbyte_b32_e64_dpp v5, v1, v2, s3 quad_perm:[3,2,1,0]
// GFX11: v_alignbyte_b32_e64_dpp v5, v1, v2, s3 quad_perm:[3,2,1,0] row_mask:0xf bank_mask:0xf ; encoding: [0x05,0x00,0x17,0xd6,0xfa,0x04,0x0e,0x00,0x01,0x1b,0x00,0xff]

v_alignbyte_b32_e64_dpp v5, v1, v2, src_scc quad_perm:[3,2,1,0]
// GFX11: v_alignbyte_b32_e64_dpp v5, v1, v2, src_scc quad_perm:[3,2,1,0] row_mask:0xf bank_mask:0xf ; encoding: [0x05,0x00,0x17,0xd6,0xfa,0x04,0xf6,0x03,0x01,0x1b,0x00,0xff]

v_alignbyte_b32_e64_dpp v5, v1, v2, ttmp15 quad_perm:[3,2,1,0]
// GFX11: v_alignbyte_b32_e64_dpp v5, v1, v2, ttmp15 quad_perm:[3,2,1,0] row_mask:0xf bank_mask:0xf ; encoding: [0x05,0x00,0x17,0xd6,0xfa,0x04,0xee,0x01,0x01,0x1b,0x00,0xff]

v_alignbyte_b32_e64_dpp v5, v1, v2, v255.h quad_perm:[3,2,1,0]
// GFX11: v_alignbyte_b32_e64_dpp v5, v1, v2, v255.h op_sel:[0,0,1,0] quad_perm:[3,2,1,0] row_mask:0xf bank_mask:0xf ; encoding: [0x05,0x20,0x17,0xd6,0xfa,0x04,0xfe,0x07,0x01,0x1b,0x00,0xff]

v_alignbyte_b32_e64_dpp v5, v1, v2, v255.l quad_perm:[3,2,1,0]
// GFX11: v_alignbyte_b32_e64_dpp v5, v1, v2, v255.l quad_perm:[3,2,1,0] row_mask:0xf bank_mask:0xf ; encoding: [0x05,0x00,0x17,0xd6,0xfa,0x04,0xfe,0x07,0x01,0x1b,0x00,0xff]

v_alignbyte_b32_e64_dpp v5, v1, v2, v3.h quad_perm:[3,2,1,0]
// GFX11: v_alignbyte_b32_e64_dpp v5, v1, v2, v3.h op_sel:[0,0,1,0] quad_perm:[3,2,1,0] row_mask:0xf bank_mask:0xf ; encoding: [0x05,0x20,0x17,0xd6,0xfa,0x04,0x0e,0x04,0x01,0x1b,0x00,0xff]

v_alignbyte_b32_e64_dpp v5, v1, v2, vcc_hi quad_perm:[3,2,1,0]
// GFX11: v_alignbyte_b32_e64_dpp v5, v1, v2, vcc_hi quad_perm:[3,2,1,0] row_mask:0xf bank_mask:0xf ; encoding: [0x05,0x00,0x17,0xd6,0xfa,0x04,0xae,0x01,0x01,0x1b,0x00,0xff]

v_alignbyte_b32_e64_dpp v5, v1, v2, vcc_lo quad_perm:[3,2,1,0]
// GFX11: v_alignbyte_b32_e64_dpp v5, v1, v2, vcc_lo quad_perm:[3,2,1,0] row_mask:0xf bank_mask:0xf ; encoding: [0x05,0x00,0x17,0xd6,0xfa,0x04,0xaa,0x01,0x01,0x1b,0x00,0xff]

v_alignbyte_b32_e64_dpp v5, v1, v2, v3.h op_sel:[0,0,1,0] quad_perm:[3,2,1,0]
// GFX11: v_alignbyte_b32_e64_dpp v5, v1, v2, v3.h op_sel:[0,0,1,0] quad_perm:[3,2,1,0] row_mask:0xf bank_mask:0xf ; encoding: [0x05,0x20,0x17,0xd6,0xfa,0x04,0x0e,0x04,0x01,0x1b,0x00,0xff]

v_alignbyte_b32_e64_dpp v5, v1, v2, v3.l quad_perm:[3,2,1,0] bound_ctrl:0
// GFX11: v_alignbyte_b32_e64_dpp v5, v1, v2, v3.l quad_perm:[3,2,1,0] row_mask:0xf bank_mask:0xf ; encoding: [0x05,0x00,0x17,0xd6,0xfa,0x04,0x0e,0x04,0x01,0x1b,0x00,0xff]

v_alignbyte_b32_e64_dpp v5, v1, v2, v3.l quad_perm:[3,2,1,0] bound_ctrl:1
// GFX11: v_alignbyte_b32_e64_dpp v5, v1, v2, v3.l quad_perm:[3,2,1,0] row_mask:0xf bank_mask:0xf bound_ctrl:1 ; encoding: [0x05,0x00,0x17,0xd6,0xfa,0x04,0x0e,0x04,0x01,0x1b,0x08,0xff]

v_alignbyte_b32_e64_dpp v5, v1, v2, v3.l quad_perm:[0,1,2,3]
// GFX11: v_alignbyte_b32_e64_dpp v5, v1, v2, v3.l quad_perm:[0,1,2,3] row_mask:0xf bank_mask:0xf ; encoding: [0x05,0x00,0x17,0xd6,0xfa,0x04,0x0e,0x04,0x01,0xe4,0x00,0xff]

v_alignbyte_b32_e64_dpp v5, v1, v2, v3.l row_half_mirror
// GFX11: v_alignbyte_b32_e64_dpp v5, v1, v2, v3.l row_half_mirror row_mask:0xf bank_mask:0xf ; encoding: [0x05,0x00,0x17,0xd6,0xfa,0x04,0x0e,0x04,0x01,0x41,0x01,0xff]

v_alignbyte_b32_e64_dpp v5, v1, v2, v3.l row_mirror
// GFX11: v_alignbyte_b32_e64_dpp v5, v1, v2, v3.l row_mirror row_mask:0xf bank_mask:0xf ; encoding: [0x05,0x00,0x17,0xd6,0xfa,0x04,0x0e,0x04,0x01,0x40,0x01,0xff]

v_alignbyte_b32_e64_dpp v5, v1, v2, v3.l row_ror:1
// GFX11: v_alignbyte_b32_e64_dpp v5, v1, v2, v3.l row_ror:1 row_mask:0xf bank_mask:0xf ; encoding: [0x05,0x00,0x17,0xd6,0xfa,0x04,0x0e,0x04,0x01,0x21,0x01,0xff]

v_alignbyte_b32_e64_dpp v5, v1, v2, v3.l row_ror:15
// GFX11: v_alignbyte_b32_e64_dpp v5, v1, v2, v3.l row_ror:15 row_mask:0xf bank_mask:0xf ; encoding: [0x05,0x00,0x17,0xd6,0xfa,0x04,0x0e,0x04,0x01,0x2f,0x01,0xff]

v_alignbyte_b32_e64_dpp v5, v1, v2, v3.l row_share:0
// GFX11: v_alignbyte_b32_e64_dpp v5, v1, v2, v3.l row_share:0 row_mask:0xf bank_mask:0xf ; encoding: [0x05,0x00,0x17,0xd6,0xfa,0x04,0x0e,0x04,0x01,0x50,0x01,0xff]

v_alignbyte_b32_e64_dpp v5, v1, v2, v3.l row_share:15
// GFX11: v_alignbyte_b32_e64_dpp v5, v1, v2, v3.l row_share:15 row_mask:0xf bank_mask:0xf ; encoding: [0x05,0x00,0x17,0xd6,0xfa,0x04,0x0e,0x04,0x01,0x5f,0x01,0xff]

v_alignbyte_b32_e64_dpp v5, v1, v2, v3.l row_shl:1
// GFX11: v_alignbyte_b32_e64_dpp v5, v1, v2, v3.l row_shl:1 row_mask:0xf bank_mask:0xf ; encoding: [0x05,0x00,0x17,0xd6,0xfa,0x04,0x0e,0x04,0x01,0x01,0x01,0xff]

v_alignbyte_b32_e64_dpp v5, v1, v2, v3.l row_shl:15
// GFX11: v_alignbyte_b32_e64_dpp v5, v1, v2, v3.l row_shl:15 row_mask:0xf bank_mask:0xf ; encoding: [0x05,0x00,0x17,0xd6,0xfa,0x04,0x0e,0x04,0x01,0x0f,0x01,0xff]

v_alignbyte_b32_e64_dpp v5, v1, v2, v3.l row_shr:1
// GFX11: v_alignbyte_b32_e64_dpp v5, v1, v2, v3.l row_shr:1 row_mask:0xf bank_mask:0xf ; encoding: [0x05,0x00,0x17,0xd6,0xfa,0x04,0x0e,0x04,0x01,0x11,0x01,0xff]

v_alignbyte_b32_e64_dpp v5, v1, v2, v3.l row_shr:15
// GFX11: v_alignbyte_b32_e64_dpp v5, v1, v2, v3.l row_shr:15 row_mask:0xf bank_mask:0xf ; encoding: [0x05,0x00,0x17,0xd6,0xfa,0x04,0x0e,0x04,0x01,0x1f,0x01,0xff]

v_alignbyte_b32_e64_dpp v5, v1, v2, v3.l row_xmask:0
// GFX11: v_alignbyte_b32_e64_dpp v5, v1, v2, v3.l row_xmask:0 row_mask:0xf bank_mask:0xf ; encoding: [0x05,0x00,0x17,0xd6,0xfa,0x04,0x0e,0x04,0x01,0x60,0x01,0xff]

v_alignbyte_b32_e64_dpp v5, v1, v2, v3.l row_xmask:15
// GFX11: v_alignbyte_b32_e64_dpp v5, v1, v2, v3.l row_xmask:15 row_mask:0xf bank_mask:0xf ; encoding: [0x05,0x00,0x17,0xd6,0xfa,0x04,0x0e,0x04,0x01,0x6f,0x01,0xff]

v_alignbyte_b32_e64_dpp v5, v1, v2, v3.l quad_perm:[3,2,1,0] fi:0
// GFX11: v_alignbyte_b32_e64_dpp v5, v1, v2, v3.l quad_perm:[3,2,1,0] row_mask:0xf bank_mask:0xf ; encoding: [0x05,0x00,0x17,0xd6,0xfa,0x04,0x0e,0x04,0x01,0x1b,0x00,0xff]

v_alignbyte_b32_e64_dpp v5, v1, v2, v3.l quad_perm:[3,2,1,0] fi:1
// GFX11: v_alignbyte_b32_e64_dpp v5, v1, v2, v3.l quad_perm:[3,2,1,0] row_mask:0xf bank_mask:0xf fi:1 ; encoding: [0x05,0x00,0x17,0xd6,0xfa,0x04,0x0e,0x04,0x01,0x1b,0x04,0xff]

v_alignbyte_b32_e64_dpp v5, v1, v2, v3.l quad_perm:[3,2,1,0] row_mask:0x0 bank_mask:0x1
// GFX11: v_alignbyte_b32_e64_dpp v5, v1, v2, v3.l quad_perm:[3,2,1,0] row_mask:0x0 bank_mask:0x1 ; encoding: [0x05,0x00,0x17,0xd6,0xfa,0x04,0x0e,0x04,0x01,0x1b,0x00,0x01]

v_alignbyte_b32_e64_dpp v5, v1, v2, v3.l quad_perm:[3,2,1,0] row_mask:0x3 bank_mask:0x0
// GFX11: v_alignbyte_b32_e64_dpp v5, v1, v2, v3.l quad_perm:[3,2,1,0] row_mask:0x3 bank_mask:0x0 ; encoding: [0x05,0x00,0x17,0xd6,0xfa,0x04,0x0e,0x04,0x01,0x1b,0x00,0x30]
	;; [unrolled: 3-line block ×3, first 2 shown]

v_alignbyte_b32_e64_dpp v5, v1, v2, v3.l clamp quad_perm:[3,2,1,0]
// GFX11: v_alignbyte_b32_e64_dpp v5, v1, v2, v3.l clamp quad_perm:[3,2,1,0] row_mask:0xf bank_mask:0xf ; encoding: [0x05,0x80,0x17,0xd6,0xfa,0x04,0x0e,0x04,0x01,0x1b,0x00,0xff]

v_and_b16_e64_dpp v5.l, v1.l, v2.l quad_perm:[3,2,1,0]
// GFX11: v_and_b16_e64_dpp v5.l, v1.l, v2.l quad_perm:[3,2,1,0] row_mask:0xf bank_mask:0xf ; encoding: [0x05,0x00,0x62,0xd7,0xfa,0x04,0x02,0x00,0x01,0x1b,0x00,0xff]

v_and_b16_e64_dpp v255.l, v255.l, v255.l quad_perm:[3,2,1,0]
// GFX11: v_and_b16_e64_dpp v255.l, v255.l, v255.l quad_perm:[3,2,1,0] row_mask:0xf bank_mask:0xf ; encoding: [0xff,0x00,0x62,0xd7,0xfa,0xfe,0x03,0x00,0xff,0x1b,0x00,0xff]

v_and_b16_e64_dpp v5.l, v1.h, v2.l op_sel:[1,0,0] quad_perm:[3,2,1,0]
// GFX11: v_and_b16_e64_dpp v5.l, v1.h, v2.l op_sel:[1,0,0] quad_perm:[3,2,1,0] row_mask:0xf bank_mask:0xf ; encoding: [0x05,0x08,0x62,0xd7,0xfa,0x04,0x02,0x00,0x01,0x1b,0x00,0xff]

v_and_b16_e64_dpp v5.l, v1.l, v2.h op_sel:[0,1,0] quad_perm:[3,2,1,0]
// GFX11: v_and_b16_e64_dpp v5.l, v1.l, v2.h op_sel:[0,1,0] quad_perm:[3,2,1,0] row_mask:0xf bank_mask:0xf ; encoding: [0x05,0x10,0x62,0xd7,0xfa,0x04,0x02,0x00,0x01,0x1b,0x00,0xff]

v_and_b16_e64_dpp v5.l, v1.l, v2.l quad_perm:[3,2,1,0] bound_ctrl:0
// GFX11: v_and_b16_e64_dpp v5.l, v1.l, v2.l quad_perm:[3,2,1,0] row_mask:0xf bank_mask:0xf ; encoding: [0x05,0x00,0x62,0xd7,0xfa,0x04,0x02,0x00,0x01,0x1b,0x00,0xff]

v_and_b16_e64_dpp v5.l, v1.l, v2.l quad_perm:[3,2,1,0] bound_ctrl:1
// GFX11: v_and_b16_e64_dpp v5.l, v1.l, v2.l quad_perm:[3,2,1,0] row_mask:0xf bank_mask:0xf bound_ctrl:1 ; encoding: [0x05,0x00,0x62,0xd7,0xfa,0x04,0x02,0x00,0x01,0x1b,0x08,0xff]

v_and_b16_e64_dpp v5.l, v1.l, v2.l quad_perm:[0,1,2,3]
// GFX11: v_and_b16_e64_dpp v5.l, v1.l, v2.l quad_perm:[0,1,2,3] row_mask:0xf bank_mask:0xf ; encoding: [0x05,0x00,0x62,0xd7,0xfa,0x04,0x02,0x00,0x01,0xe4,0x00,0xff]

v_and_b16_e64_dpp v5.l, v1.l, v2.l row_half_mirror
// GFX11: v_and_b16_e64_dpp v5.l, v1.l, v2.l row_half_mirror row_mask:0xf bank_mask:0xf ; encoding: [0x05,0x00,0x62,0xd7,0xfa,0x04,0x02,0x00,0x01,0x41,0x01,0xff]

v_and_b16_e64_dpp v5.l, v1.l, v2.l row_mirror
// GFX11: v_and_b16_e64_dpp v5.l, v1.l, v2.l row_mirror row_mask:0xf bank_mask:0xf ; encoding: [0x05,0x00,0x62,0xd7,0xfa,0x04,0x02,0x00,0x01,0x40,0x01,0xff]

v_and_b16_e64_dpp v5.l, v1.l, v2.l row_ror:1
// GFX11: v_and_b16_e64_dpp v5.l, v1.l, v2.l row_ror:1 row_mask:0xf bank_mask:0xf ; encoding: [0x05,0x00,0x62,0xd7,0xfa,0x04,0x02,0x00,0x01,0x21,0x01,0xff]

v_and_b16_e64_dpp v5.l, v1.l, v2.l row_ror:15
// GFX11: v_and_b16_e64_dpp v5.l, v1.l, v2.l row_ror:15 row_mask:0xf bank_mask:0xf ; encoding: [0x05,0x00,0x62,0xd7,0xfa,0x04,0x02,0x00,0x01,0x2f,0x01,0xff]

v_and_b16_e64_dpp v5.l, v1.l, v2.l row_share:0
// GFX11: v_and_b16_e64_dpp v5.l, v1.l, v2.l row_share:0 row_mask:0xf bank_mask:0xf ; encoding: [0x05,0x00,0x62,0xd7,0xfa,0x04,0x02,0x00,0x01,0x50,0x01,0xff]

v_and_b16_e64_dpp v5.l, v1.l, v2.l row_share:15
// GFX11: v_and_b16_e64_dpp v5.l, v1.l, v2.l row_share:15 row_mask:0xf bank_mask:0xf ; encoding: [0x05,0x00,0x62,0xd7,0xfa,0x04,0x02,0x00,0x01,0x5f,0x01,0xff]

v_and_b16_e64_dpp v5.l, v1.l, v2.l row_shl:1
// GFX11: v_and_b16_e64_dpp v5.l, v1.l, v2.l row_shl:1 row_mask:0xf bank_mask:0xf ; encoding: [0x05,0x00,0x62,0xd7,0xfa,0x04,0x02,0x00,0x01,0x01,0x01,0xff]

v_and_b16_e64_dpp v5.l, v1.l, v2.l row_shl:15
// GFX11: v_and_b16_e64_dpp v5.l, v1.l, v2.l row_shl:15 row_mask:0xf bank_mask:0xf ; encoding: [0x05,0x00,0x62,0xd7,0xfa,0x04,0x02,0x00,0x01,0x0f,0x01,0xff]

v_and_b16_e64_dpp v5.l, v1.l, v2.l row_shr:1
// GFX11: v_and_b16_e64_dpp v5.l, v1.l, v2.l row_shr:1 row_mask:0xf bank_mask:0xf ; encoding: [0x05,0x00,0x62,0xd7,0xfa,0x04,0x02,0x00,0x01,0x11,0x01,0xff]

v_and_b16_e64_dpp v5.l, v1.l, v2.l row_shr:15
// GFX11: v_and_b16_e64_dpp v5.l, v1.l, v2.l row_shr:15 row_mask:0xf bank_mask:0xf ; encoding: [0x05,0x00,0x62,0xd7,0xfa,0x04,0x02,0x00,0x01,0x1f,0x01,0xff]

v_and_b16_e64_dpp v5.l, v1.l, v2.l row_xmask:0
// GFX11: v_and_b16_e64_dpp v5.l, v1.l, v2.l row_xmask:0 row_mask:0xf bank_mask:0xf ; encoding: [0x05,0x00,0x62,0xd7,0xfa,0x04,0x02,0x00,0x01,0x60,0x01,0xff]

v_and_b16_e64_dpp v5.l, v1.l, v2.l row_xmask:15
// GFX11: v_and_b16_e64_dpp v5.l, v1.l, v2.l row_xmask:15 row_mask:0xf bank_mask:0xf ; encoding: [0x05,0x00,0x62,0xd7,0xfa,0x04,0x02,0x00,0x01,0x6f,0x01,0xff]

v_and_b16_e64_dpp v5.l, v1.l, v2.l quad_perm:[3,2,1,0] fi:0
// GFX11: v_and_b16_e64_dpp v5.l, v1.l, v2.l quad_perm:[3,2,1,0] row_mask:0xf bank_mask:0xf ; encoding: [0x05,0x00,0x62,0xd7,0xfa,0x04,0x02,0x00,0x01,0x1b,0x00,0xff]

v_and_b16_e64_dpp v5.l, v1.l, v2.l quad_perm:[3,2,1,0] fi:1
// GFX11: v_and_b16_e64_dpp v5.l, v1.l, v2.l quad_perm:[3,2,1,0] row_mask:0xf bank_mask:0xf fi:1 ; encoding: [0x05,0x00,0x62,0xd7,0xfa,0x04,0x02,0x00,0x01,0x1b,0x04,0xff]

v_and_b16_e64_dpp v5.l, v1.l, v2.l quad_perm:[3,2,1,0] row_mask:0x0 bank_mask:0x1
// GFX11: v_and_b16_e64_dpp v5.l, v1.l, v2.l quad_perm:[3,2,1,0] row_mask:0x0 bank_mask:0x1 ; encoding: [0x05,0x00,0x62,0xd7,0xfa,0x04,0x02,0x00,0x01,0x1b,0x00,0x01]

v_and_b16_e64_dpp v5.l, v1.l, v2.l quad_perm:[3,2,1,0] row_mask:0x3 bank_mask:0x0
// GFX11: v_and_b16_e64_dpp v5.l, v1.l, v2.l quad_perm:[3,2,1,0] row_mask:0x3 bank_mask:0x0 ; encoding: [0x05,0x00,0x62,0xd7,0xfa,0x04,0x02,0x00,0x01,0x1b,0x00,0x30]
	;; [unrolled: 3-line block ×3, first 2 shown]

v_and_or_b32_e64_dpp v5, v1, v2, v3 quad_perm:[3,2,1,0]
// GFX11: v_and_or_b32_e64_dpp v5, v1, v2, v3 quad_perm:[3,2,1,0] row_mask:0xf bank_mask:0xf ; encoding: [0x05,0x00,0x57,0xd6,0xfa,0x04,0x0e,0x04,0x01,0x1b,0x00,0xff]

v_and_or_b32_e64_dpp v255, v255, v255, v255 quad_perm:[3,2,1,0]
// GFX11: v_and_or_b32_e64_dpp v255, v255, v255, v255 quad_perm:[3,2,1,0] row_mask:0xf bank_mask:0xf ; encoding: [0xff,0x00,0x57,0xd6,0xfa,0xfe,0xff,0x07,0xff,0x1b,0x00,0xff]

v_and_or_b32_e64_dpp v5, v1, v2, -1 quad_perm:[3,2,1,0]
// GFX11: v_and_or_b32_e64_dpp v5, v1, v2, -1 quad_perm:[3,2,1,0] row_mask:0xf bank_mask:0xf ; encoding: [0x05,0x00,0x57,0xd6,0xfa,0x04,0x06,0x03,0x01,0x1b,0x00,0xff]

v_and_or_b32_e64_dpp v5, v1, v2, 0.5 quad_perm:[3,2,1,0]
// GFX11: v_and_or_b32_e64_dpp v5, v1, v2, 0.5 quad_perm:[3,2,1,0] row_mask:0xf bank_mask:0xf ; encoding: [0x05,0x00,0x57,0xd6,0xfa,0x04,0xc2,0x03,0x01,0x1b,0x00,0xff]

v_and_or_b32_e64_dpp v5, v1, v2, exec_hi quad_perm:[3,2,1,0]
// GFX11: v_and_or_b32_e64_dpp v5, v1, v2, exec_hi quad_perm:[3,2,1,0] row_mask:0xf bank_mask:0xf ; encoding: [0x05,0x00,0x57,0xd6,0xfa,0x04,0xfe,0x01,0x01,0x1b,0x00,0xff]

v_and_or_b32_e64_dpp v5, v1, v2, exec_lo quad_perm:[3,2,1,0]
// GFX11: v_and_or_b32_e64_dpp v5, v1, v2, exec_lo quad_perm:[3,2,1,0] row_mask:0xf bank_mask:0xf ; encoding: [0x05,0x00,0x57,0xd6,0xfa,0x04,0xfa,0x01,0x01,0x1b,0x00,0xff]

v_and_or_b32_e64_dpp v5, v1, v2, m0 quad_perm:[3,2,1,0]
// GFX11: v_and_or_b32_e64_dpp v5, v1, v2, m0 quad_perm:[3,2,1,0] row_mask:0xf bank_mask:0xf ; encoding: [0x05,0x00,0x57,0xd6,0xfa,0x04,0xf6,0x01,0x01,0x1b,0x00,0xff]

v_and_or_b32_e64_dpp v5, v1, v2, null quad_perm:[3,2,1,0]
// GFX11: v_and_or_b32_e64_dpp v5, v1, v2, null quad_perm:[3,2,1,0] row_mask:0xf bank_mask:0xf ; encoding: [0x05,0x00,0x57,0xd6,0xfa,0x04,0xf2,0x01,0x01,0x1b,0x00,0xff]

v_and_or_b32_e64_dpp v5, v1, v2, s105 quad_perm:[3,2,1,0]
// GFX11: v_and_or_b32_e64_dpp v5, v1, v2, s105 quad_perm:[3,2,1,0] row_mask:0xf bank_mask:0xf ; encoding: [0x05,0x00,0x57,0xd6,0xfa,0x04,0xa6,0x01,0x01,0x1b,0x00,0xff]

v_and_or_b32_e64_dpp v5, v1, v2, s3 quad_perm:[3,2,1,0]
// GFX11: v_and_or_b32_e64_dpp v5, v1, v2, s3 quad_perm:[3,2,1,0] row_mask:0xf bank_mask:0xf ; encoding: [0x05,0x00,0x57,0xd6,0xfa,0x04,0x0e,0x00,0x01,0x1b,0x00,0xff]

v_and_or_b32_e64_dpp v5, v1, v2, src_scc quad_perm:[3,2,1,0]
// GFX11: v_and_or_b32_e64_dpp v5, v1, v2, src_scc quad_perm:[3,2,1,0] row_mask:0xf bank_mask:0xf ; encoding: [0x05,0x00,0x57,0xd6,0xfa,0x04,0xf6,0x03,0x01,0x1b,0x00,0xff]

v_and_or_b32_e64_dpp v5, v1, v2, ttmp15 quad_perm:[3,2,1,0]
// GFX11: v_and_or_b32_e64_dpp v5, v1, v2, ttmp15 quad_perm:[3,2,1,0] row_mask:0xf bank_mask:0xf ; encoding: [0x05,0x00,0x57,0xd6,0xfa,0x04,0xee,0x01,0x01,0x1b,0x00,0xff]

v_and_or_b32_e64_dpp v5, v1, v2, v255 quad_perm:[3,2,1,0]
// GFX11: v_and_or_b32_e64_dpp v5, v1, v2, v255 quad_perm:[3,2,1,0] row_mask:0xf bank_mask:0xf ; encoding: [0x05,0x00,0x57,0xd6,0xfa,0x04,0xfe,0x07,0x01,0x1b,0x00,0xff]

v_and_or_b32_e64_dpp v5, v1, v2, vcc_hi quad_perm:[3,2,1,0]
// GFX11: v_and_or_b32_e64_dpp v5, v1, v2, vcc_hi quad_perm:[3,2,1,0] row_mask:0xf bank_mask:0xf ; encoding: [0x05,0x00,0x57,0xd6,0xfa,0x04,0xae,0x01,0x01,0x1b,0x00,0xff]

v_and_or_b32_e64_dpp v5, v1, v2, vcc_lo quad_perm:[3,2,1,0]
// GFX11: v_and_or_b32_e64_dpp v5, v1, v2, vcc_lo quad_perm:[3,2,1,0] row_mask:0xf bank_mask:0xf ; encoding: [0x05,0x00,0x57,0xd6,0xfa,0x04,0xaa,0x01,0x01,0x1b,0x00,0xff]

v_and_or_b32_e64_dpp v5, v1, v2, v3 quad_perm:[3,2,1,0] bound_ctrl:0
// GFX11: v_and_or_b32_e64_dpp v5, v1, v2, v3 quad_perm:[3,2,1,0] row_mask:0xf bank_mask:0xf ; encoding: [0x05,0x00,0x57,0xd6,0xfa,0x04,0x0e,0x04,0x01,0x1b,0x00,0xff]

v_and_or_b32_e64_dpp v5, v1, v2, v3 quad_perm:[3,2,1,0] bound_ctrl:1
// GFX11: v_and_or_b32_e64_dpp v5, v1, v2, v3 quad_perm:[3,2,1,0] row_mask:0xf bank_mask:0xf bound_ctrl:1 ; encoding: [0x05,0x00,0x57,0xd6,0xfa,0x04,0x0e,0x04,0x01,0x1b,0x08,0xff]

v_and_or_b32_e64_dpp v5, v1, v2, v3 quad_perm:[0,1,2,3]
// GFX11: v_and_or_b32_e64_dpp v5, v1, v2, v3 quad_perm:[0,1,2,3] row_mask:0xf bank_mask:0xf ; encoding: [0x05,0x00,0x57,0xd6,0xfa,0x04,0x0e,0x04,0x01,0xe4,0x00,0xff]

v_and_or_b32_e64_dpp v5, v1, v2, v3 row_half_mirror
// GFX11: v_and_or_b32_e64_dpp v5, v1, v2, v3 row_half_mirror row_mask:0xf bank_mask:0xf ; encoding: [0x05,0x00,0x57,0xd6,0xfa,0x04,0x0e,0x04,0x01,0x41,0x01,0xff]

v_and_or_b32_e64_dpp v5, v1, v2, v3 row_mirror
// GFX11: v_and_or_b32_e64_dpp v5, v1, v2, v3 row_mirror row_mask:0xf bank_mask:0xf ; encoding: [0x05,0x00,0x57,0xd6,0xfa,0x04,0x0e,0x04,0x01,0x40,0x01,0xff]

v_and_or_b32_e64_dpp v5, v1, v2, v3 row_ror:1
// GFX11: v_and_or_b32_e64_dpp v5, v1, v2, v3 row_ror:1 row_mask:0xf bank_mask:0xf ; encoding: [0x05,0x00,0x57,0xd6,0xfa,0x04,0x0e,0x04,0x01,0x21,0x01,0xff]

v_and_or_b32_e64_dpp v5, v1, v2, v3 row_ror:15
// GFX11: v_and_or_b32_e64_dpp v5, v1, v2, v3 row_ror:15 row_mask:0xf bank_mask:0xf ; encoding: [0x05,0x00,0x57,0xd6,0xfa,0x04,0x0e,0x04,0x01,0x2f,0x01,0xff]

v_and_or_b32_e64_dpp v5, v1, v2, v3 row_share:0
// GFX11: v_and_or_b32_e64_dpp v5, v1, v2, v3 row_share:0 row_mask:0xf bank_mask:0xf ; encoding: [0x05,0x00,0x57,0xd6,0xfa,0x04,0x0e,0x04,0x01,0x50,0x01,0xff]

v_and_or_b32_e64_dpp v5, v1, v2, v3 row_share:15
// GFX11: v_and_or_b32_e64_dpp v5, v1, v2, v3 row_share:15 row_mask:0xf bank_mask:0xf ; encoding: [0x05,0x00,0x57,0xd6,0xfa,0x04,0x0e,0x04,0x01,0x5f,0x01,0xff]

v_and_or_b32_e64_dpp v5, v1, v2, v3 row_shl:1
// GFX11: v_and_or_b32_e64_dpp v5, v1, v2, v3 row_shl:1 row_mask:0xf bank_mask:0xf ; encoding: [0x05,0x00,0x57,0xd6,0xfa,0x04,0x0e,0x04,0x01,0x01,0x01,0xff]

v_and_or_b32_e64_dpp v5, v1, v2, v3 row_shl:15
// GFX11: v_and_or_b32_e64_dpp v5, v1, v2, v3 row_shl:15 row_mask:0xf bank_mask:0xf ; encoding: [0x05,0x00,0x57,0xd6,0xfa,0x04,0x0e,0x04,0x01,0x0f,0x01,0xff]

v_and_or_b32_e64_dpp v5, v1, v2, v3 row_shr:1
// GFX11: v_and_or_b32_e64_dpp v5, v1, v2, v3 row_shr:1 row_mask:0xf bank_mask:0xf ; encoding: [0x05,0x00,0x57,0xd6,0xfa,0x04,0x0e,0x04,0x01,0x11,0x01,0xff]

v_and_or_b32_e64_dpp v5, v1, v2, v3 row_shr:15
// GFX11: v_and_or_b32_e64_dpp v5, v1, v2, v3 row_shr:15 row_mask:0xf bank_mask:0xf ; encoding: [0x05,0x00,0x57,0xd6,0xfa,0x04,0x0e,0x04,0x01,0x1f,0x01,0xff]

v_and_or_b32_e64_dpp v5, v1, v2, v3 row_xmask:0
// GFX11: v_and_or_b32_e64_dpp v5, v1, v2, v3 row_xmask:0 row_mask:0xf bank_mask:0xf ; encoding: [0x05,0x00,0x57,0xd6,0xfa,0x04,0x0e,0x04,0x01,0x60,0x01,0xff]

v_and_or_b32_e64_dpp v5, v1, v2, v3 row_xmask:15
// GFX11: v_and_or_b32_e64_dpp v5, v1, v2, v3 row_xmask:15 row_mask:0xf bank_mask:0xf ; encoding: [0x05,0x00,0x57,0xd6,0xfa,0x04,0x0e,0x04,0x01,0x6f,0x01,0xff]

v_and_or_b32_e64_dpp v5, v1, v2, v3 quad_perm:[3,2,1,0] fi:0
// GFX11: v_and_or_b32_e64_dpp v5, v1, v2, v3 quad_perm:[3,2,1,0] row_mask:0xf bank_mask:0xf ; encoding: [0x05,0x00,0x57,0xd6,0xfa,0x04,0x0e,0x04,0x01,0x1b,0x00,0xff]

v_and_or_b32_e64_dpp v5, v1, v2, v3 quad_perm:[3,2,1,0] fi:1
// GFX11: v_and_or_b32_e64_dpp v5, v1, v2, v3 quad_perm:[3,2,1,0] row_mask:0xf bank_mask:0xf fi:1 ; encoding: [0x05,0x00,0x57,0xd6,0xfa,0x04,0x0e,0x04,0x01,0x1b,0x04,0xff]

v_and_or_b32_e64_dpp v5, v1, v2, v3 quad_perm:[3,2,1,0] row_mask:0x0 bank_mask:0x1
// GFX11: v_and_or_b32_e64_dpp v5, v1, v2, v3 quad_perm:[3,2,1,0] row_mask:0x0 bank_mask:0x1 ; encoding: [0x05,0x00,0x57,0xd6,0xfa,0x04,0x0e,0x04,0x01,0x1b,0x00,0x01]

v_and_or_b32_e64_dpp v5, v1, v2, v3 quad_perm:[3,2,1,0] row_mask:0x3 bank_mask:0x0
// GFX11: v_and_or_b32_e64_dpp v5, v1, v2, v3 quad_perm:[3,2,1,0] row_mask:0x3 bank_mask:0x0 ; encoding: [0x05,0x00,0x57,0xd6,0xfa,0x04,0x0e,0x04,0x01,0x1b,0x00,0x30]
	;; [unrolled: 3-line block ×3, first 2 shown]

v_ashrrev_i16_e64_dpp v5.l, v1.l, v2.l quad_perm:[3,2,1,0]
// GFX11: v_ashrrev_i16_e64_dpp v5.l, v1.l, v2.l quad_perm:[3,2,1,0] row_mask:0xf bank_mask:0xf ; encoding: [0x05,0x00,0x3a,0xd7,0xfa,0x04,0x02,0x00,0x01,0x1b,0x00,0xff]

v_ashrrev_i16_e64_dpp v255.l, v255.l, v255.l quad_perm:[3,2,1,0]
// GFX11: v_ashrrev_i16_e64_dpp v255.l, v255.l, v255.l quad_perm:[3,2,1,0] row_mask:0xf bank_mask:0xf ; encoding: [0xff,0x00,0x3a,0xd7,0xfa,0xfe,0x03,0x00,0xff,0x1b,0x00,0xff]

v_ashrrev_i16_e64_dpp v5.l, v1.h, v2.l op_sel:[1,0,0] quad_perm:[3,2,1,0]
// GFX11: v_ashrrev_i16_e64_dpp v5.l, v1.h, v2.l op_sel:[1,0,0] quad_perm:[3,2,1,0] row_mask:0xf bank_mask:0xf ; encoding: [0x05,0x08,0x3a,0xd7,0xfa,0x04,0x02,0x00,0x01,0x1b,0x00,0xff]

v_ashrrev_i16_e64_dpp v5.l, v1.l, v2.h op_sel:[0,1,0] quad_perm:[3,2,1,0]
// GFX11: v_ashrrev_i16_e64_dpp v5.l, v1.l, v2.h op_sel:[0,1,0] quad_perm:[3,2,1,0] row_mask:0xf bank_mask:0xf ; encoding: [0x05,0x10,0x3a,0xd7,0xfa,0x04,0x02,0x00,0x01,0x1b,0x00,0xff]

v_ashrrev_i16_e64_dpp v5.l, v1.l, v2.l quad_perm:[3,2,1,0] bound_ctrl:0
// GFX11: v_ashrrev_i16_e64_dpp v5.l, v1.l, v2.l quad_perm:[3,2,1,0] row_mask:0xf bank_mask:0xf ; encoding: [0x05,0x00,0x3a,0xd7,0xfa,0x04,0x02,0x00,0x01,0x1b,0x00,0xff]

v_ashrrev_i16_e64_dpp v5.l, v1.l, v2.l quad_perm:[3,2,1,0] bound_ctrl:1
// GFX11: v_ashrrev_i16_e64_dpp v5.l, v1.l, v2.l quad_perm:[3,2,1,0] row_mask:0xf bank_mask:0xf bound_ctrl:1 ; encoding: [0x05,0x00,0x3a,0xd7,0xfa,0x04,0x02,0x00,0x01,0x1b,0x08,0xff]

v_ashrrev_i16_e64_dpp v5.l, v1.l, v2.l quad_perm:[0,1,2,3]
// GFX11: v_ashrrev_i16_e64_dpp v5.l, v1.l, v2.l quad_perm:[0,1,2,3] row_mask:0xf bank_mask:0xf ; encoding: [0x05,0x00,0x3a,0xd7,0xfa,0x04,0x02,0x00,0x01,0xe4,0x00,0xff]

v_ashrrev_i16_e64_dpp v5.l, v1.l, v2.l row_half_mirror
// GFX11: v_ashrrev_i16_e64_dpp v5.l, v1.l, v2.l row_half_mirror row_mask:0xf bank_mask:0xf ; encoding: [0x05,0x00,0x3a,0xd7,0xfa,0x04,0x02,0x00,0x01,0x41,0x01,0xff]

v_ashrrev_i16_e64_dpp v5.l, v1.l, v2.l row_mirror
// GFX11: v_ashrrev_i16_e64_dpp v5.l, v1.l, v2.l row_mirror row_mask:0xf bank_mask:0xf ; encoding: [0x05,0x00,0x3a,0xd7,0xfa,0x04,0x02,0x00,0x01,0x40,0x01,0xff]

v_ashrrev_i16_e64_dpp v5.l, v1.l, v2.l row_ror:1
// GFX11: v_ashrrev_i16_e64_dpp v5.l, v1.l, v2.l row_ror:1 row_mask:0xf bank_mask:0xf ; encoding: [0x05,0x00,0x3a,0xd7,0xfa,0x04,0x02,0x00,0x01,0x21,0x01,0xff]

v_ashrrev_i16_e64_dpp v5.l, v1.l, v2.l row_ror:15
// GFX11: v_ashrrev_i16_e64_dpp v5.l, v1.l, v2.l row_ror:15 row_mask:0xf bank_mask:0xf ; encoding: [0x05,0x00,0x3a,0xd7,0xfa,0x04,0x02,0x00,0x01,0x2f,0x01,0xff]

v_ashrrev_i16_e64_dpp v5.l, v1.l, v2.l row_share:0
// GFX11: v_ashrrev_i16_e64_dpp v5.l, v1.l, v2.l row_share:0 row_mask:0xf bank_mask:0xf ; encoding: [0x05,0x00,0x3a,0xd7,0xfa,0x04,0x02,0x00,0x01,0x50,0x01,0xff]

v_ashrrev_i16_e64_dpp v5.l, v1.l, v2.l row_share:15
// GFX11: v_ashrrev_i16_e64_dpp v5.l, v1.l, v2.l row_share:15 row_mask:0xf bank_mask:0xf ; encoding: [0x05,0x00,0x3a,0xd7,0xfa,0x04,0x02,0x00,0x01,0x5f,0x01,0xff]

v_ashrrev_i16_e64_dpp v5.l, v1.l, v2.l row_shl:1
// GFX11: v_ashrrev_i16_e64_dpp v5.l, v1.l, v2.l row_shl:1 row_mask:0xf bank_mask:0xf ; encoding: [0x05,0x00,0x3a,0xd7,0xfa,0x04,0x02,0x00,0x01,0x01,0x01,0xff]

v_ashrrev_i16_e64_dpp v5.l, v1.l, v2.l row_shl:15
// GFX11: v_ashrrev_i16_e64_dpp v5.l, v1.l, v2.l row_shl:15 row_mask:0xf bank_mask:0xf ; encoding: [0x05,0x00,0x3a,0xd7,0xfa,0x04,0x02,0x00,0x01,0x0f,0x01,0xff]

v_ashrrev_i16_e64_dpp v5.l, v1.l, v2.l row_shr:1
// GFX11: v_ashrrev_i16_e64_dpp v5.l, v1.l, v2.l row_shr:1 row_mask:0xf bank_mask:0xf ; encoding: [0x05,0x00,0x3a,0xd7,0xfa,0x04,0x02,0x00,0x01,0x11,0x01,0xff]

v_ashrrev_i16_e64_dpp v5.l, v1.l, v2.l row_shr:15
// GFX11: v_ashrrev_i16_e64_dpp v5.l, v1.l, v2.l row_shr:15 row_mask:0xf bank_mask:0xf ; encoding: [0x05,0x00,0x3a,0xd7,0xfa,0x04,0x02,0x00,0x01,0x1f,0x01,0xff]

v_ashrrev_i16_e64_dpp v5.l, v1.l, v2.l row_xmask:0
// GFX11: v_ashrrev_i16_e64_dpp v5.l, v1.l, v2.l row_xmask:0 row_mask:0xf bank_mask:0xf ; encoding: [0x05,0x00,0x3a,0xd7,0xfa,0x04,0x02,0x00,0x01,0x60,0x01,0xff]

v_ashrrev_i16_e64_dpp v5.l, v1.l, v2.l row_xmask:15
// GFX11: v_ashrrev_i16_e64_dpp v5.l, v1.l, v2.l row_xmask:15 row_mask:0xf bank_mask:0xf ; encoding: [0x05,0x00,0x3a,0xd7,0xfa,0x04,0x02,0x00,0x01,0x6f,0x01,0xff]

v_ashrrev_i16_e64_dpp v5.l, v1.l, v2.l quad_perm:[3,2,1,0] fi:0
// GFX11: v_ashrrev_i16_e64_dpp v5.l, v1.l, v2.l quad_perm:[3,2,1,0] row_mask:0xf bank_mask:0xf ; encoding: [0x05,0x00,0x3a,0xd7,0xfa,0x04,0x02,0x00,0x01,0x1b,0x00,0xff]

v_ashrrev_i16_e64_dpp v5.l, v1.l, v2.l quad_perm:[3,2,1,0] fi:1
// GFX11: v_ashrrev_i16_e64_dpp v5.l, v1.l, v2.l quad_perm:[3,2,1,0] row_mask:0xf bank_mask:0xf fi:1 ; encoding: [0x05,0x00,0x3a,0xd7,0xfa,0x04,0x02,0x00,0x01,0x1b,0x04,0xff]

v_ashrrev_i16_e64_dpp v5.l, v1.l, v2.l quad_perm:[3,2,1,0] row_mask:0x0 bank_mask:0x1
// GFX11: v_ashrrev_i16_e64_dpp v5.l, v1.l, v2.l quad_perm:[3,2,1,0] row_mask:0x0 bank_mask:0x1 ; encoding: [0x05,0x00,0x3a,0xd7,0xfa,0x04,0x02,0x00,0x01,0x1b,0x00,0x01]

v_ashrrev_i16_e64_dpp v5.l, v1.l, v2.l quad_perm:[3,2,1,0] row_mask:0x3 bank_mask:0x0
// GFX11: v_ashrrev_i16_e64_dpp v5.l, v1.l, v2.l quad_perm:[3,2,1,0] row_mask:0x3 bank_mask:0x0 ; encoding: [0x05,0x00,0x3a,0xd7,0xfa,0x04,0x02,0x00,0x01,0x1b,0x00,0x30]
	;; [unrolled: 3-line block ×3, first 2 shown]

v_bcnt_u32_b32_e64_dpp v5, v1, v2 quad_perm:[3,2,1,0]
// GFX11: v_bcnt_u32_b32_e64_dpp v5, v1, v2 quad_perm:[3,2,1,0] row_mask:0xf bank_mask:0xf ; encoding: [0x05,0x00,0x1e,0xd7,0xfa,0x04,0x02,0x00,0x01,0x1b,0x00,0xff]

v_bcnt_u32_b32_e64_dpp v255, v255, v255 quad_perm:[3,2,1,0]
// GFX11: v_bcnt_u32_b32_e64_dpp v255, v255, v255 quad_perm:[3,2,1,0] row_mask:0xf bank_mask:0xf ; encoding: [0xff,0x00,0x1e,0xd7,0xfa,0xfe,0x03,0x00,0xff,0x1b,0x00,0xff]

v_bcnt_u32_b32_e64_dpp v5, v1, v2 quad_perm:[3,2,1,0] bound_ctrl:0
// GFX11: v_bcnt_u32_b32_e64_dpp v5, v1, v2 quad_perm:[3,2,1,0] row_mask:0xf bank_mask:0xf ; encoding: [0x05,0x00,0x1e,0xd7,0xfa,0x04,0x02,0x00,0x01,0x1b,0x00,0xff]

v_bcnt_u32_b32_e64_dpp v5, v1, v2 quad_perm:[3,2,1,0] bound_ctrl:1
// GFX11: v_bcnt_u32_b32_e64_dpp v5, v1, v2 quad_perm:[3,2,1,0] row_mask:0xf bank_mask:0xf bound_ctrl:1 ; encoding: [0x05,0x00,0x1e,0xd7,0xfa,0x04,0x02,0x00,0x01,0x1b,0x08,0xff]

v_bcnt_u32_b32_e64_dpp v5, v1, v2 quad_perm:[0,1,2,3]
// GFX11: v_bcnt_u32_b32_e64_dpp v5, v1, v2 quad_perm:[0,1,2,3] row_mask:0xf bank_mask:0xf ; encoding: [0x05,0x00,0x1e,0xd7,0xfa,0x04,0x02,0x00,0x01,0xe4,0x00,0xff]

v_bcnt_u32_b32_e64_dpp v5, v1, v2 row_half_mirror
// GFX11: v_bcnt_u32_b32_e64_dpp v5, v1, v2 row_half_mirror row_mask:0xf bank_mask:0xf ; encoding: [0x05,0x00,0x1e,0xd7,0xfa,0x04,0x02,0x00,0x01,0x41,0x01,0xff]

v_bcnt_u32_b32_e64_dpp v5, v1, v2 row_mirror
// GFX11: v_bcnt_u32_b32_e64_dpp v5, v1, v2 row_mirror row_mask:0xf bank_mask:0xf ; encoding: [0x05,0x00,0x1e,0xd7,0xfa,0x04,0x02,0x00,0x01,0x40,0x01,0xff]

v_bcnt_u32_b32_e64_dpp v5, v1, v2 row_ror:1
// GFX11: v_bcnt_u32_b32_e64_dpp v5, v1, v2 row_ror:1 row_mask:0xf bank_mask:0xf ; encoding: [0x05,0x00,0x1e,0xd7,0xfa,0x04,0x02,0x00,0x01,0x21,0x01,0xff]

v_bcnt_u32_b32_e64_dpp v5, v1, v2 row_ror:15
// GFX11: v_bcnt_u32_b32_e64_dpp v5, v1, v2 row_ror:15 row_mask:0xf bank_mask:0xf ; encoding: [0x05,0x00,0x1e,0xd7,0xfa,0x04,0x02,0x00,0x01,0x2f,0x01,0xff]

v_bcnt_u32_b32_e64_dpp v5, v1, v2 row_share:0
// GFX11: v_bcnt_u32_b32_e64_dpp v5, v1, v2 row_share:0 row_mask:0xf bank_mask:0xf ; encoding: [0x05,0x00,0x1e,0xd7,0xfa,0x04,0x02,0x00,0x01,0x50,0x01,0xff]

v_bcnt_u32_b32_e64_dpp v5, v1, v2 row_share:15
// GFX11: v_bcnt_u32_b32_e64_dpp v5, v1, v2 row_share:15 row_mask:0xf bank_mask:0xf ; encoding: [0x05,0x00,0x1e,0xd7,0xfa,0x04,0x02,0x00,0x01,0x5f,0x01,0xff]

v_bcnt_u32_b32_e64_dpp v5, v1, v2 row_shl:1
// GFX11: v_bcnt_u32_b32_e64_dpp v5, v1, v2 row_shl:1 row_mask:0xf bank_mask:0xf ; encoding: [0x05,0x00,0x1e,0xd7,0xfa,0x04,0x02,0x00,0x01,0x01,0x01,0xff]

v_bcnt_u32_b32_e64_dpp v5, v1, v2 row_shl:15
// GFX11: v_bcnt_u32_b32_e64_dpp v5, v1, v2 row_shl:15 row_mask:0xf bank_mask:0xf ; encoding: [0x05,0x00,0x1e,0xd7,0xfa,0x04,0x02,0x00,0x01,0x0f,0x01,0xff]

v_bcnt_u32_b32_e64_dpp v5, v1, v2 row_shr:1
// GFX11: v_bcnt_u32_b32_e64_dpp v5, v1, v2 row_shr:1 row_mask:0xf bank_mask:0xf ; encoding: [0x05,0x00,0x1e,0xd7,0xfa,0x04,0x02,0x00,0x01,0x11,0x01,0xff]

v_bcnt_u32_b32_e64_dpp v5, v1, v2 row_shr:15
// GFX11: v_bcnt_u32_b32_e64_dpp v5, v1, v2 row_shr:15 row_mask:0xf bank_mask:0xf ; encoding: [0x05,0x00,0x1e,0xd7,0xfa,0x04,0x02,0x00,0x01,0x1f,0x01,0xff]

v_bcnt_u32_b32_e64_dpp v5, v1, v2 row_xmask:0
// GFX11: v_bcnt_u32_b32_e64_dpp v5, v1, v2 row_xmask:0 row_mask:0xf bank_mask:0xf ; encoding: [0x05,0x00,0x1e,0xd7,0xfa,0x04,0x02,0x00,0x01,0x60,0x01,0xff]

v_bcnt_u32_b32_e64_dpp v5, v1, v2 row_xmask:15
// GFX11: v_bcnt_u32_b32_e64_dpp v5, v1, v2 row_xmask:15 row_mask:0xf bank_mask:0xf ; encoding: [0x05,0x00,0x1e,0xd7,0xfa,0x04,0x02,0x00,0x01,0x6f,0x01,0xff]

v_bcnt_u32_b32_e64_dpp v5, v1, v2 quad_perm:[3,2,1,0] fi:0
// GFX11: v_bcnt_u32_b32_e64_dpp v5, v1, v2 quad_perm:[3,2,1,0] row_mask:0xf bank_mask:0xf ; encoding: [0x05,0x00,0x1e,0xd7,0xfa,0x04,0x02,0x00,0x01,0x1b,0x00,0xff]

v_bcnt_u32_b32_e64_dpp v5, v1, v2 quad_perm:[3,2,1,0] fi:1
// GFX11: v_bcnt_u32_b32_e64_dpp v5, v1, v2 quad_perm:[3,2,1,0] row_mask:0xf bank_mask:0xf fi:1 ; encoding: [0x05,0x00,0x1e,0xd7,0xfa,0x04,0x02,0x00,0x01,0x1b,0x04,0xff]

v_bcnt_u32_b32_e64_dpp v5, v1, v2 quad_perm:[3,2,1,0] row_mask:0x0 bank_mask:0x1
// GFX11: v_bcnt_u32_b32_e64_dpp v5, v1, v2 quad_perm:[3,2,1,0] row_mask:0x0 bank_mask:0x1 ; encoding: [0x05,0x00,0x1e,0xd7,0xfa,0x04,0x02,0x00,0x01,0x1b,0x00,0x01]

v_bcnt_u32_b32_e64_dpp v5, v1, v2 quad_perm:[3,2,1,0] row_mask:0x3 bank_mask:0x0
// GFX11: v_bcnt_u32_b32_e64_dpp v5, v1, v2 quad_perm:[3,2,1,0] row_mask:0x3 bank_mask:0x0 ; encoding: [0x05,0x00,0x1e,0xd7,0xfa,0x04,0x02,0x00,0x01,0x1b,0x00,0x30]
	;; [unrolled: 3-line block ×3, first 2 shown]

v_bfe_i32_e64_dpp v5, v1, v2, v3 quad_perm:[3,2,1,0]
// GFX11: v_bfe_i32_e64_dpp v5, v1, v2, v3 quad_perm:[3,2,1,0] row_mask:0xf bank_mask:0xf ; encoding: [0x05,0x00,0x11,0xd6,0xfa,0x04,0x0e,0x04,0x01,0x1b,0x00,0xff]

v_bfe_i32_e64_dpp v255, v255, v255, v255 quad_perm:[3,2,1,0]
// GFX11: v_bfe_i32_e64_dpp v255, v255, v255, v255 quad_perm:[3,2,1,0] row_mask:0xf bank_mask:0xf ; encoding: [0xff,0x00,0x11,0xd6,0xfa,0xfe,0xff,0x07,0xff,0x1b,0x00,0xff]

v_bfe_i32_e64_dpp v5, v1, v2, -1 quad_perm:[3,2,1,0]
// GFX11: v_bfe_i32_e64_dpp v5, v1, v2, -1 quad_perm:[3,2,1,0] row_mask:0xf bank_mask:0xf ; encoding: [0x05,0x00,0x11,0xd6,0xfa,0x04,0x06,0x03,0x01,0x1b,0x00,0xff]

v_bfe_i32_e64_dpp v5, v1, v2, 0.5 quad_perm:[3,2,1,0]
// GFX11: v_bfe_i32_e64_dpp v5, v1, v2, 0.5 quad_perm:[3,2,1,0] row_mask:0xf bank_mask:0xf ; encoding: [0x05,0x00,0x11,0xd6,0xfa,0x04,0xc2,0x03,0x01,0x1b,0x00,0xff]

v_bfe_i32_e64_dpp v5, v1, v2, exec_hi quad_perm:[3,2,1,0]
// GFX11: v_bfe_i32_e64_dpp v5, v1, v2, exec_hi quad_perm:[3,2,1,0] row_mask:0xf bank_mask:0xf ; encoding: [0x05,0x00,0x11,0xd6,0xfa,0x04,0xfe,0x01,0x01,0x1b,0x00,0xff]

v_bfe_i32_e64_dpp v5, v1, v2, exec_lo quad_perm:[3,2,1,0]
// GFX11: v_bfe_i32_e64_dpp v5, v1, v2, exec_lo quad_perm:[3,2,1,0] row_mask:0xf bank_mask:0xf ; encoding: [0x05,0x00,0x11,0xd6,0xfa,0x04,0xfa,0x01,0x01,0x1b,0x00,0xff]

v_bfe_i32_e64_dpp v5, v1, v2, m0 quad_perm:[3,2,1,0]
// GFX11: v_bfe_i32_e64_dpp v5, v1, v2, m0 quad_perm:[3,2,1,0] row_mask:0xf bank_mask:0xf ; encoding: [0x05,0x00,0x11,0xd6,0xfa,0x04,0xf6,0x01,0x01,0x1b,0x00,0xff]

v_bfe_i32_e64_dpp v5, v1, v2, null quad_perm:[3,2,1,0]
// GFX11: v_bfe_i32_e64_dpp v5, v1, v2, null quad_perm:[3,2,1,0] row_mask:0xf bank_mask:0xf ; encoding: [0x05,0x00,0x11,0xd6,0xfa,0x04,0xf2,0x01,0x01,0x1b,0x00,0xff]

v_bfe_i32_e64_dpp v5, v1, v2, s105 quad_perm:[3,2,1,0]
// GFX11: v_bfe_i32_e64_dpp v5, v1, v2, s105 quad_perm:[3,2,1,0] row_mask:0xf bank_mask:0xf ; encoding: [0x05,0x00,0x11,0xd6,0xfa,0x04,0xa6,0x01,0x01,0x1b,0x00,0xff]

v_bfe_i32_e64_dpp v5, v1, v2, s3 quad_perm:[3,2,1,0]
// GFX11: v_bfe_i32_e64_dpp v5, v1, v2, s3 quad_perm:[3,2,1,0] row_mask:0xf bank_mask:0xf ; encoding: [0x05,0x00,0x11,0xd6,0xfa,0x04,0x0e,0x00,0x01,0x1b,0x00,0xff]

v_bfe_i32_e64_dpp v5, v1, v2, src_scc quad_perm:[3,2,1,0]
// GFX11: v_bfe_i32_e64_dpp v5, v1, v2, src_scc quad_perm:[3,2,1,0] row_mask:0xf bank_mask:0xf ; encoding: [0x05,0x00,0x11,0xd6,0xfa,0x04,0xf6,0x03,0x01,0x1b,0x00,0xff]

v_bfe_i32_e64_dpp v5, v1, v2, ttmp15 quad_perm:[3,2,1,0]
// GFX11: v_bfe_i32_e64_dpp v5, v1, v2, ttmp15 quad_perm:[3,2,1,0] row_mask:0xf bank_mask:0xf ; encoding: [0x05,0x00,0x11,0xd6,0xfa,0x04,0xee,0x01,0x01,0x1b,0x00,0xff]

v_bfe_i32_e64_dpp v5, v1, v2, v255 quad_perm:[3,2,1,0]
// GFX11: v_bfe_i32_e64_dpp v5, v1, v2, v255 quad_perm:[3,2,1,0] row_mask:0xf bank_mask:0xf ; encoding: [0x05,0x00,0x11,0xd6,0xfa,0x04,0xfe,0x07,0x01,0x1b,0x00,0xff]

v_bfe_i32_e64_dpp v5, v1, v2, vcc_hi quad_perm:[3,2,1,0]
// GFX11: v_bfe_i32_e64_dpp v5, v1, v2, vcc_hi quad_perm:[3,2,1,0] row_mask:0xf bank_mask:0xf ; encoding: [0x05,0x00,0x11,0xd6,0xfa,0x04,0xae,0x01,0x01,0x1b,0x00,0xff]

v_bfe_i32_e64_dpp v5, v1, v2, vcc_lo quad_perm:[3,2,1,0]
// GFX11: v_bfe_i32_e64_dpp v5, v1, v2, vcc_lo quad_perm:[3,2,1,0] row_mask:0xf bank_mask:0xf ; encoding: [0x05,0x00,0x11,0xd6,0xfa,0x04,0xaa,0x01,0x01,0x1b,0x00,0xff]

v_bfe_i32_e64_dpp v5, v1, v2, v3 quad_perm:[3,2,1,0] bound_ctrl:0
// GFX11: v_bfe_i32_e64_dpp v5, v1, v2, v3 quad_perm:[3,2,1,0] row_mask:0xf bank_mask:0xf ; encoding: [0x05,0x00,0x11,0xd6,0xfa,0x04,0x0e,0x04,0x01,0x1b,0x00,0xff]

v_bfe_i32_e64_dpp v5, v1, v2, v3 quad_perm:[3,2,1,0] bound_ctrl:1
// GFX11: v_bfe_i32_e64_dpp v5, v1, v2, v3 quad_perm:[3,2,1,0] row_mask:0xf bank_mask:0xf bound_ctrl:1 ; encoding: [0x05,0x00,0x11,0xd6,0xfa,0x04,0x0e,0x04,0x01,0x1b,0x08,0xff]

v_bfe_i32_e64_dpp v5, v1, v2, v3 quad_perm:[0,1,2,3]
// GFX11: v_bfe_i32_e64_dpp v5, v1, v2, v3 quad_perm:[0,1,2,3] row_mask:0xf bank_mask:0xf ; encoding: [0x05,0x00,0x11,0xd6,0xfa,0x04,0x0e,0x04,0x01,0xe4,0x00,0xff]

v_bfe_i32_e64_dpp v5, v1, v2, v3 row_half_mirror
// GFX11: v_bfe_i32_e64_dpp v5, v1, v2, v3 row_half_mirror row_mask:0xf bank_mask:0xf ; encoding: [0x05,0x00,0x11,0xd6,0xfa,0x04,0x0e,0x04,0x01,0x41,0x01,0xff]

v_bfe_i32_e64_dpp v5, v1, v2, v3 row_mirror
// GFX11: v_bfe_i32_e64_dpp v5, v1, v2, v3 row_mirror row_mask:0xf bank_mask:0xf ; encoding: [0x05,0x00,0x11,0xd6,0xfa,0x04,0x0e,0x04,0x01,0x40,0x01,0xff]

v_bfe_i32_e64_dpp v5, v1, v2, v3 row_ror:1
// GFX11: v_bfe_i32_e64_dpp v5, v1, v2, v3 row_ror:1 row_mask:0xf bank_mask:0xf ; encoding: [0x05,0x00,0x11,0xd6,0xfa,0x04,0x0e,0x04,0x01,0x21,0x01,0xff]

v_bfe_i32_e64_dpp v5, v1, v2, v3 row_ror:15
// GFX11: v_bfe_i32_e64_dpp v5, v1, v2, v3 row_ror:15 row_mask:0xf bank_mask:0xf ; encoding: [0x05,0x00,0x11,0xd6,0xfa,0x04,0x0e,0x04,0x01,0x2f,0x01,0xff]

v_bfe_i32_e64_dpp v5, v1, v2, v3 row_share:0
// GFX11: v_bfe_i32_e64_dpp v5, v1, v2, v3 row_share:0 row_mask:0xf bank_mask:0xf ; encoding: [0x05,0x00,0x11,0xd6,0xfa,0x04,0x0e,0x04,0x01,0x50,0x01,0xff]

v_bfe_i32_e64_dpp v5, v1, v2, v3 row_share:15
// GFX11: v_bfe_i32_e64_dpp v5, v1, v2, v3 row_share:15 row_mask:0xf bank_mask:0xf ; encoding: [0x05,0x00,0x11,0xd6,0xfa,0x04,0x0e,0x04,0x01,0x5f,0x01,0xff]

v_bfe_i32_e64_dpp v5, v1, v2, v3 row_shl:1
// GFX11: v_bfe_i32_e64_dpp v5, v1, v2, v3 row_shl:1 row_mask:0xf bank_mask:0xf ; encoding: [0x05,0x00,0x11,0xd6,0xfa,0x04,0x0e,0x04,0x01,0x01,0x01,0xff]

v_bfe_i32_e64_dpp v5, v1, v2, v3 row_shl:15
// GFX11: v_bfe_i32_e64_dpp v5, v1, v2, v3 row_shl:15 row_mask:0xf bank_mask:0xf ; encoding: [0x05,0x00,0x11,0xd6,0xfa,0x04,0x0e,0x04,0x01,0x0f,0x01,0xff]

v_bfe_i32_e64_dpp v5, v1, v2, v3 row_shr:1
// GFX11: v_bfe_i32_e64_dpp v5, v1, v2, v3 row_shr:1 row_mask:0xf bank_mask:0xf ; encoding: [0x05,0x00,0x11,0xd6,0xfa,0x04,0x0e,0x04,0x01,0x11,0x01,0xff]

v_bfe_i32_e64_dpp v5, v1, v2, v3 row_shr:15
// GFX11: v_bfe_i32_e64_dpp v5, v1, v2, v3 row_shr:15 row_mask:0xf bank_mask:0xf ; encoding: [0x05,0x00,0x11,0xd6,0xfa,0x04,0x0e,0x04,0x01,0x1f,0x01,0xff]

v_bfe_i32_e64_dpp v5, v1, v2, v3 row_xmask:0
// GFX11: v_bfe_i32_e64_dpp v5, v1, v2, v3 row_xmask:0 row_mask:0xf bank_mask:0xf ; encoding: [0x05,0x00,0x11,0xd6,0xfa,0x04,0x0e,0x04,0x01,0x60,0x01,0xff]

v_bfe_i32_e64_dpp v5, v1, v2, v3 row_xmask:15
// GFX11: v_bfe_i32_e64_dpp v5, v1, v2, v3 row_xmask:15 row_mask:0xf bank_mask:0xf ; encoding: [0x05,0x00,0x11,0xd6,0xfa,0x04,0x0e,0x04,0x01,0x6f,0x01,0xff]

v_bfe_i32_e64_dpp v5, v1, v2, v3 quad_perm:[3,2,1,0] fi:0
// GFX11: v_bfe_i32_e64_dpp v5, v1, v2, v3 quad_perm:[3,2,1,0] row_mask:0xf bank_mask:0xf ; encoding: [0x05,0x00,0x11,0xd6,0xfa,0x04,0x0e,0x04,0x01,0x1b,0x00,0xff]

v_bfe_i32_e64_dpp v5, v1, v2, v3 quad_perm:[3,2,1,0] fi:1
// GFX11: v_bfe_i32_e64_dpp v5, v1, v2, v3 quad_perm:[3,2,1,0] row_mask:0xf bank_mask:0xf fi:1 ; encoding: [0x05,0x00,0x11,0xd6,0xfa,0x04,0x0e,0x04,0x01,0x1b,0x04,0xff]

v_bfe_i32_e64_dpp v5, v1, v2, v3 quad_perm:[3,2,1,0] row_mask:0x0 bank_mask:0x1
// GFX11: v_bfe_i32_e64_dpp v5, v1, v2, v3 quad_perm:[3,2,1,0] row_mask:0x0 bank_mask:0x1 ; encoding: [0x05,0x00,0x11,0xd6,0xfa,0x04,0x0e,0x04,0x01,0x1b,0x00,0x01]

v_bfe_i32_e64_dpp v5, v1, v2, v3 quad_perm:[3,2,1,0] row_mask:0x3 bank_mask:0x0
// GFX11: v_bfe_i32_e64_dpp v5, v1, v2, v3 quad_perm:[3,2,1,0] row_mask:0x3 bank_mask:0x0 ; encoding: [0x05,0x00,0x11,0xd6,0xfa,0x04,0x0e,0x04,0x01,0x1b,0x00,0x30]
	;; [unrolled: 3-line block ×3, first 2 shown]

v_bfe_u32_e64_dpp v5, v1, v2, v3 quad_perm:[3,2,1,0]
// GFX11: v_bfe_u32_e64_dpp v5, v1, v2, v3 quad_perm:[3,2,1,0] row_mask:0xf bank_mask:0xf ; encoding: [0x05,0x00,0x10,0xd6,0xfa,0x04,0x0e,0x04,0x01,0x1b,0x00,0xff]

v_bfe_u32_e64_dpp v255, v255, v255, v255 quad_perm:[3,2,1,0]
// GFX11: v_bfe_u32_e64_dpp v255, v255, v255, v255 quad_perm:[3,2,1,0] row_mask:0xf bank_mask:0xf ; encoding: [0xff,0x00,0x10,0xd6,0xfa,0xfe,0xff,0x07,0xff,0x1b,0x00,0xff]

v_bfe_u32_e64_dpp v5, v1, v2, -1 quad_perm:[3,2,1,0]
// GFX11: v_bfe_u32_e64_dpp v5, v1, v2, -1 quad_perm:[3,2,1,0] row_mask:0xf bank_mask:0xf ; encoding: [0x05,0x00,0x10,0xd6,0xfa,0x04,0x06,0x03,0x01,0x1b,0x00,0xff]

v_bfe_u32_e64_dpp v5, v1, v2, 0.5 quad_perm:[3,2,1,0]
// GFX11: v_bfe_u32_e64_dpp v5, v1, v2, 0.5 quad_perm:[3,2,1,0] row_mask:0xf bank_mask:0xf ; encoding: [0x05,0x00,0x10,0xd6,0xfa,0x04,0xc2,0x03,0x01,0x1b,0x00,0xff]

v_bfe_u32_e64_dpp v5, v1, v2, exec_hi quad_perm:[3,2,1,0]
// GFX11: v_bfe_u32_e64_dpp v5, v1, v2, exec_hi quad_perm:[3,2,1,0] row_mask:0xf bank_mask:0xf ; encoding: [0x05,0x00,0x10,0xd6,0xfa,0x04,0xfe,0x01,0x01,0x1b,0x00,0xff]

v_bfe_u32_e64_dpp v5, v1, v2, exec_lo quad_perm:[3,2,1,0]
// GFX11: v_bfe_u32_e64_dpp v5, v1, v2, exec_lo quad_perm:[3,2,1,0] row_mask:0xf bank_mask:0xf ; encoding: [0x05,0x00,0x10,0xd6,0xfa,0x04,0xfa,0x01,0x01,0x1b,0x00,0xff]

v_bfe_u32_e64_dpp v5, v1, v2, m0 quad_perm:[3,2,1,0]
// GFX11: v_bfe_u32_e64_dpp v5, v1, v2, m0 quad_perm:[3,2,1,0] row_mask:0xf bank_mask:0xf ; encoding: [0x05,0x00,0x10,0xd6,0xfa,0x04,0xf6,0x01,0x01,0x1b,0x00,0xff]

v_bfe_u32_e64_dpp v5, v1, v2, null quad_perm:[3,2,1,0]
// GFX11: v_bfe_u32_e64_dpp v5, v1, v2, null quad_perm:[3,2,1,0] row_mask:0xf bank_mask:0xf ; encoding: [0x05,0x00,0x10,0xd6,0xfa,0x04,0xf2,0x01,0x01,0x1b,0x00,0xff]

v_bfe_u32_e64_dpp v5, v1, v2, s105 quad_perm:[3,2,1,0]
// GFX11: v_bfe_u32_e64_dpp v5, v1, v2, s105 quad_perm:[3,2,1,0] row_mask:0xf bank_mask:0xf ; encoding: [0x05,0x00,0x10,0xd6,0xfa,0x04,0xa6,0x01,0x01,0x1b,0x00,0xff]

v_bfe_u32_e64_dpp v5, v1, v2, s3 quad_perm:[3,2,1,0]
// GFX11: v_bfe_u32_e64_dpp v5, v1, v2, s3 quad_perm:[3,2,1,0] row_mask:0xf bank_mask:0xf ; encoding: [0x05,0x00,0x10,0xd6,0xfa,0x04,0x0e,0x00,0x01,0x1b,0x00,0xff]

v_bfe_u32_e64_dpp v5, v1, v2, src_scc quad_perm:[3,2,1,0]
// GFX11: v_bfe_u32_e64_dpp v5, v1, v2, src_scc quad_perm:[3,2,1,0] row_mask:0xf bank_mask:0xf ; encoding: [0x05,0x00,0x10,0xd6,0xfa,0x04,0xf6,0x03,0x01,0x1b,0x00,0xff]

v_bfe_u32_e64_dpp v5, v1, v2, ttmp15 quad_perm:[3,2,1,0]
// GFX11: v_bfe_u32_e64_dpp v5, v1, v2, ttmp15 quad_perm:[3,2,1,0] row_mask:0xf bank_mask:0xf ; encoding: [0x05,0x00,0x10,0xd6,0xfa,0x04,0xee,0x01,0x01,0x1b,0x00,0xff]

v_bfe_u32_e64_dpp v5, v1, v2, v255 quad_perm:[3,2,1,0]
// GFX11: v_bfe_u32_e64_dpp v5, v1, v2, v255 quad_perm:[3,2,1,0] row_mask:0xf bank_mask:0xf ; encoding: [0x05,0x00,0x10,0xd6,0xfa,0x04,0xfe,0x07,0x01,0x1b,0x00,0xff]

v_bfe_u32_e64_dpp v5, v1, v2, vcc_hi quad_perm:[3,2,1,0]
// GFX11: v_bfe_u32_e64_dpp v5, v1, v2, vcc_hi quad_perm:[3,2,1,0] row_mask:0xf bank_mask:0xf ; encoding: [0x05,0x00,0x10,0xd6,0xfa,0x04,0xae,0x01,0x01,0x1b,0x00,0xff]

v_bfe_u32_e64_dpp v5, v1, v2, vcc_lo quad_perm:[3,2,1,0]
// GFX11: v_bfe_u32_e64_dpp v5, v1, v2, vcc_lo quad_perm:[3,2,1,0] row_mask:0xf bank_mask:0xf ; encoding: [0x05,0x00,0x10,0xd6,0xfa,0x04,0xaa,0x01,0x01,0x1b,0x00,0xff]

v_bfe_u32_e64_dpp v5, v1, v2, v3 quad_perm:[3,2,1,0] bound_ctrl:0
// GFX11: v_bfe_u32_e64_dpp v5, v1, v2, v3 quad_perm:[3,2,1,0] row_mask:0xf bank_mask:0xf ; encoding: [0x05,0x00,0x10,0xd6,0xfa,0x04,0x0e,0x04,0x01,0x1b,0x00,0xff]

v_bfe_u32_e64_dpp v5, v1, v2, v3 quad_perm:[3,2,1,0] bound_ctrl:1
// GFX11: v_bfe_u32_e64_dpp v5, v1, v2, v3 quad_perm:[3,2,1,0] row_mask:0xf bank_mask:0xf bound_ctrl:1 ; encoding: [0x05,0x00,0x10,0xd6,0xfa,0x04,0x0e,0x04,0x01,0x1b,0x08,0xff]

v_bfe_u32_e64_dpp v5, v1, v2, v3 quad_perm:[0,1,2,3]
// GFX11: v_bfe_u32_e64_dpp v5, v1, v2, v3 quad_perm:[0,1,2,3] row_mask:0xf bank_mask:0xf ; encoding: [0x05,0x00,0x10,0xd6,0xfa,0x04,0x0e,0x04,0x01,0xe4,0x00,0xff]

v_bfe_u32_e64_dpp v5, v1, v2, v3 row_half_mirror
// GFX11: v_bfe_u32_e64_dpp v5, v1, v2, v3 row_half_mirror row_mask:0xf bank_mask:0xf ; encoding: [0x05,0x00,0x10,0xd6,0xfa,0x04,0x0e,0x04,0x01,0x41,0x01,0xff]

v_bfe_u32_e64_dpp v5, v1, v2, v3 row_mirror
// GFX11: v_bfe_u32_e64_dpp v5, v1, v2, v3 row_mirror row_mask:0xf bank_mask:0xf ; encoding: [0x05,0x00,0x10,0xd6,0xfa,0x04,0x0e,0x04,0x01,0x40,0x01,0xff]

v_bfe_u32_e64_dpp v5, v1, v2, v3 row_ror:1
// GFX11: v_bfe_u32_e64_dpp v5, v1, v2, v3 row_ror:1 row_mask:0xf bank_mask:0xf ; encoding: [0x05,0x00,0x10,0xd6,0xfa,0x04,0x0e,0x04,0x01,0x21,0x01,0xff]

v_bfe_u32_e64_dpp v5, v1, v2, v3 row_ror:15
// GFX11: v_bfe_u32_e64_dpp v5, v1, v2, v3 row_ror:15 row_mask:0xf bank_mask:0xf ; encoding: [0x05,0x00,0x10,0xd6,0xfa,0x04,0x0e,0x04,0x01,0x2f,0x01,0xff]

v_bfe_u32_e64_dpp v5, v1, v2, v3 row_share:0
// GFX11: v_bfe_u32_e64_dpp v5, v1, v2, v3 row_share:0 row_mask:0xf bank_mask:0xf ; encoding: [0x05,0x00,0x10,0xd6,0xfa,0x04,0x0e,0x04,0x01,0x50,0x01,0xff]

v_bfe_u32_e64_dpp v5, v1, v2, v3 row_share:15
// GFX11: v_bfe_u32_e64_dpp v5, v1, v2, v3 row_share:15 row_mask:0xf bank_mask:0xf ; encoding: [0x05,0x00,0x10,0xd6,0xfa,0x04,0x0e,0x04,0x01,0x5f,0x01,0xff]

v_bfe_u32_e64_dpp v5, v1, v2, v3 row_shl:1
// GFX11: v_bfe_u32_e64_dpp v5, v1, v2, v3 row_shl:1 row_mask:0xf bank_mask:0xf ; encoding: [0x05,0x00,0x10,0xd6,0xfa,0x04,0x0e,0x04,0x01,0x01,0x01,0xff]

v_bfe_u32_e64_dpp v5, v1, v2, v3 row_shl:15
// GFX11: v_bfe_u32_e64_dpp v5, v1, v2, v3 row_shl:15 row_mask:0xf bank_mask:0xf ; encoding: [0x05,0x00,0x10,0xd6,0xfa,0x04,0x0e,0x04,0x01,0x0f,0x01,0xff]

v_bfe_u32_e64_dpp v5, v1, v2, v3 row_shr:1
// GFX11: v_bfe_u32_e64_dpp v5, v1, v2, v3 row_shr:1 row_mask:0xf bank_mask:0xf ; encoding: [0x05,0x00,0x10,0xd6,0xfa,0x04,0x0e,0x04,0x01,0x11,0x01,0xff]

v_bfe_u32_e64_dpp v5, v1, v2, v3 row_shr:15
// GFX11: v_bfe_u32_e64_dpp v5, v1, v2, v3 row_shr:15 row_mask:0xf bank_mask:0xf ; encoding: [0x05,0x00,0x10,0xd6,0xfa,0x04,0x0e,0x04,0x01,0x1f,0x01,0xff]

v_bfe_u32_e64_dpp v5, v1, v2, v3 row_xmask:0
// GFX11: v_bfe_u32_e64_dpp v5, v1, v2, v3 row_xmask:0 row_mask:0xf bank_mask:0xf ; encoding: [0x05,0x00,0x10,0xd6,0xfa,0x04,0x0e,0x04,0x01,0x60,0x01,0xff]

v_bfe_u32_e64_dpp v5, v1, v2, v3 row_xmask:15
// GFX11: v_bfe_u32_e64_dpp v5, v1, v2, v3 row_xmask:15 row_mask:0xf bank_mask:0xf ; encoding: [0x05,0x00,0x10,0xd6,0xfa,0x04,0x0e,0x04,0x01,0x6f,0x01,0xff]

v_bfe_u32_e64_dpp v5, v1, v2, v3 quad_perm:[3,2,1,0] fi:0
// GFX11: v_bfe_u32_e64_dpp v5, v1, v2, v3 quad_perm:[3,2,1,0] row_mask:0xf bank_mask:0xf ; encoding: [0x05,0x00,0x10,0xd6,0xfa,0x04,0x0e,0x04,0x01,0x1b,0x00,0xff]

v_bfe_u32_e64_dpp v5, v1, v2, v3 quad_perm:[3,2,1,0] fi:1
// GFX11: v_bfe_u32_e64_dpp v5, v1, v2, v3 quad_perm:[3,2,1,0] row_mask:0xf bank_mask:0xf fi:1 ; encoding: [0x05,0x00,0x10,0xd6,0xfa,0x04,0x0e,0x04,0x01,0x1b,0x04,0xff]

v_bfe_u32_e64_dpp v5, v1, v2, v3 quad_perm:[3,2,1,0] row_mask:0x0 bank_mask:0x1
// GFX11: v_bfe_u32_e64_dpp v5, v1, v2, v3 quad_perm:[3,2,1,0] row_mask:0x0 bank_mask:0x1 ; encoding: [0x05,0x00,0x10,0xd6,0xfa,0x04,0x0e,0x04,0x01,0x1b,0x00,0x01]

v_bfe_u32_e64_dpp v5, v1, v2, v3 quad_perm:[3,2,1,0] row_mask:0x3 bank_mask:0x0
// GFX11: v_bfe_u32_e64_dpp v5, v1, v2, v3 quad_perm:[3,2,1,0] row_mask:0x3 bank_mask:0x0 ; encoding: [0x05,0x00,0x10,0xd6,0xfa,0x04,0x0e,0x04,0x01,0x1b,0x00,0x30]

v_bfe_u32_e64_dpp v5, v1, v2, v3 quad_perm:[3,2,1,0] row_mask:0xf bank_mask:0xf
// GFX11: v_bfe_u32_e64_dpp v5, v1, v2, v3 quad_perm:[3,2,1,0] row_mask:0xf bank_mask:0xf ; encoding: [0x05,0x00,0x10,0xd6,0xfa,0x04,0x0e,0x04,0x01,0x1b,0x00,0xff]

v_bfi_b32_e64_dpp v5, v1, v2, v3 quad_perm:[3,2,1,0]
// GFX11: v_bfi_b32_e64_dpp v5, v1, v2, v3 quad_perm:[3,2,1,0] row_mask:0xf bank_mask:0xf ; encoding: [0x05,0x00,0x12,0xd6,0xfa,0x04,0x0e,0x04,0x01,0x1b,0x00,0xff]

v_bfi_b32_e64_dpp v255, v255, v255, v255 quad_perm:[3,2,1,0]
// GFX11: v_bfi_b32_e64_dpp v255, v255, v255, v255 quad_perm:[3,2,1,0] row_mask:0xf bank_mask:0xf ; encoding: [0xff,0x00,0x12,0xd6,0xfa,0xfe,0xff,0x07,0xff,0x1b,0x00,0xff]

v_bfi_b32_e64_dpp v5, v1, v2, -1 quad_perm:[3,2,1,0]
// GFX11: v_bfi_b32_e64_dpp v5, v1, v2, -1 quad_perm:[3,2,1,0] row_mask:0xf bank_mask:0xf ; encoding: [0x05,0x00,0x12,0xd6,0xfa,0x04,0x06,0x03,0x01,0x1b,0x00,0xff]

v_bfi_b32_e64_dpp v5, v1, v2, 0.5 quad_perm:[3,2,1,0]
// GFX11: v_bfi_b32_e64_dpp v5, v1, v2, 0.5 quad_perm:[3,2,1,0] row_mask:0xf bank_mask:0xf ; encoding: [0x05,0x00,0x12,0xd6,0xfa,0x04,0xc2,0x03,0x01,0x1b,0x00,0xff]

v_bfi_b32_e64_dpp v5, v1, v2, exec_hi quad_perm:[3,2,1,0]
// GFX11: v_bfi_b32_e64_dpp v5, v1, v2, exec_hi quad_perm:[3,2,1,0] row_mask:0xf bank_mask:0xf ; encoding: [0x05,0x00,0x12,0xd6,0xfa,0x04,0xfe,0x01,0x01,0x1b,0x00,0xff]

v_bfi_b32_e64_dpp v5, v1, v2, exec_lo quad_perm:[3,2,1,0]
// GFX11: v_bfi_b32_e64_dpp v5, v1, v2, exec_lo quad_perm:[3,2,1,0] row_mask:0xf bank_mask:0xf ; encoding: [0x05,0x00,0x12,0xd6,0xfa,0x04,0xfa,0x01,0x01,0x1b,0x00,0xff]

v_bfi_b32_e64_dpp v5, v1, v2, m0 quad_perm:[3,2,1,0]
// GFX11: v_bfi_b32_e64_dpp v5, v1, v2, m0 quad_perm:[3,2,1,0] row_mask:0xf bank_mask:0xf ; encoding: [0x05,0x00,0x12,0xd6,0xfa,0x04,0xf6,0x01,0x01,0x1b,0x00,0xff]

v_bfi_b32_e64_dpp v5, v1, v2, null quad_perm:[3,2,1,0]
// GFX11: v_bfi_b32_e64_dpp v5, v1, v2, null quad_perm:[3,2,1,0] row_mask:0xf bank_mask:0xf ; encoding: [0x05,0x00,0x12,0xd6,0xfa,0x04,0xf2,0x01,0x01,0x1b,0x00,0xff]

v_bfi_b32_e64_dpp v5, v1, v2, s105 quad_perm:[3,2,1,0]
// GFX11: v_bfi_b32_e64_dpp v5, v1, v2, s105 quad_perm:[3,2,1,0] row_mask:0xf bank_mask:0xf ; encoding: [0x05,0x00,0x12,0xd6,0xfa,0x04,0xa6,0x01,0x01,0x1b,0x00,0xff]

v_bfi_b32_e64_dpp v5, v1, v2, s3 quad_perm:[3,2,1,0]
// GFX11: v_bfi_b32_e64_dpp v5, v1, v2, s3 quad_perm:[3,2,1,0] row_mask:0xf bank_mask:0xf ; encoding: [0x05,0x00,0x12,0xd6,0xfa,0x04,0x0e,0x00,0x01,0x1b,0x00,0xff]

v_bfi_b32_e64_dpp v5, v1, v2, src_scc quad_perm:[3,2,1,0]
// GFX11: v_bfi_b32_e64_dpp v5, v1, v2, src_scc quad_perm:[3,2,1,0] row_mask:0xf bank_mask:0xf ; encoding: [0x05,0x00,0x12,0xd6,0xfa,0x04,0xf6,0x03,0x01,0x1b,0x00,0xff]

v_bfi_b32_e64_dpp v5, v1, v2, ttmp15 quad_perm:[3,2,1,0]
// GFX11: v_bfi_b32_e64_dpp v5, v1, v2, ttmp15 quad_perm:[3,2,1,0] row_mask:0xf bank_mask:0xf ; encoding: [0x05,0x00,0x12,0xd6,0xfa,0x04,0xee,0x01,0x01,0x1b,0x00,0xff]

v_bfi_b32_e64_dpp v5, v1, v2, v255 quad_perm:[3,2,1,0]
// GFX11: v_bfi_b32_e64_dpp v5, v1, v2, v255 quad_perm:[3,2,1,0] row_mask:0xf bank_mask:0xf ; encoding: [0x05,0x00,0x12,0xd6,0xfa,0x04,0xfe,0x07,0x01,0x1b,0x00,0xff]

v_bfi_b32_e64_dpp v5, v1, v2, vcc_hi quad_perm:[3,2,1,0]
// GFX11: v_bfi_b32_e64_dpp v5, v1, v2, vcc_hi quad_perm:[3,2,1,0] row_mask:0xf bank_mask:0xf ; encoding: [0x05,0x00,0x12,0xd6,0xfa,0x04,0xae,0x01,0x01,0x1b,0x00,0xff]

v_bfi_b32_e64_dpp v5, v1, v2, vcc_lo quad_perm:[3,2,1,0]
// GFX11: v_bfi_b32_e64_dpp v5, v1, v2, vcc_lo quad_perm:[3,2,1,0] row_mask:0xf bank_mask:0xf ; encoding: [0x05,0x00,0x12,0xd6,0xfa,0x04,0xaa,0x01,0x01,0x1b,0x00,0xff]

v_bfi_b32_e64_dpp v5, v1, v2, v3 quad_perm:[3,2,1,0] bound_ctrl:0
// GFX11: v_bfi_b32_e64_dpp v5, v1, v2, v3 quad_perm:[3,2,1,0] row_mask:0xf bank_mask:0xf ; encoding: [0x05,0x00,0x12,0xd6,0xfa,0x04,0x0e,0x04,0x01,0x1b,0x00,0xff]

v_bfi_b32_e64_dpp v5, v1, v2, v3 quad_perm:[3,2,1,0] bound_ctrl:1
// GFX11: v_bfi_b32_e64_dpp v5, v1, v2, v3 quad_perm:[3,2,1,0] row_mask:0xf bank_mask:0xf bound_ctrl:1 ; encoding: [0x05,0x00,0x12,0xd6,0xfa,0x04,0x0e,0x04,0x01,0x1b,0x08,0xff]

v_bfi_b32_e64_dpp v5, v1, v2, v3 quad_perm:[0,1,2,3]
// GFX11: v_bfi_b32_e64_dpp v5, v1, v2, v3 quad_perm:[0,1,2,3] row_mask:0xf bank_mask:0xf ; encoding: [0x05,0x00,0x12,0xd6,0xfa,0x04,0x0e,0x04,0x01,0xe4,0x00,0xff]

v_bfi_b32_e64_dpp v5, v1, v2, v3 row_half_mirror
// GFX11: v_bfi_b32_e64_dpp v5, v1, v2, v3 row_half_mirror row_mask:0xf bank_mask:0xf ; encoding: [0x05,0x00,0x12,0xd6,0xfa,0x04,0x0e,0x04,0x01,0x41,0x01,0xff]

v_bfi_b32_e64_dpp v5, v1, v2, v3 row_mirror
// GFX11: v_bfi_b32_e64_dpp v5, v1, v2, v3 row_mirror row_mask:0xf bank_mask:0xf ; encoding: [0x05,0x00,0x12,0xd6,0xfa,0x04,0x0e,0x04,0x01,0x40,0x01,0xff]

v_bfi_b32_e64_dpp v5, v1, v2, v3 row_ror:1
// GFX11: v_bfi_b32_e64_dpp v5, v1, v2, v3 row_ror:1 row_mask:0xf bank_mask:0xf ; encoding: [0x05,0x00,0x12,0xd6,0xfa,0x04,0x0e,0x04,0x01,0x21,0x01,0xff]

v_bfi_b32_e64_dpp v5, v1, v2, v3 row_ror:15
// GFX11: v_bfi_b32_e64_dpp v5, v1, v2, v3 row_ror:15 row_mask:0xf bank_mask:0xf ; encoding: [0x05,0x00,0x12,0xd6,0xfa,0x04,0x0e,0x04,0x01,0x2f,0x01,0xff]

v_bfi_b32_e64_dpp v5, v1, v2, v3 row_share:0
// GFX11: v_bfi_b32_e64_dpp v5, v1, v2, v3 row_share:0 row_mask:0xf bank_mask:0xf ; encoding: [0x05,0x00,0x12,0xd6,0xfa,0x04,0x0e,0x04,0x01,0x50,0x01,0xff]

v_bfi_b32_e64_dpp v5, v1, v2, v3 row_share:15
// GFX11: v_bfi_b32_e64_dpp v5, v1, v2, v3 row_share:15 row_mask:0xf bank_mask:0xf ; encoding: [0x05,0x00,0x12,0xd6,0xfa,0x04,0x0e,0x04,0x01,0x5f,0x01,0xff]

v_bfi_b32_e64_dpp v5, v1, v2, v3 row_shl:1
// GFX11: v_bfi_b32_e64_dpp v5, v1, v2, v3 row_shl:1 row_mask:0xf bank_mask:0xf ; encoding: [0x05,0x00,0x12,0xd6,0xfa,0x04,0x0e,0x04,0x01,0x01,0x01,0xff]

v_bfi_b32_e64_dpp v5, v1, v2, v3 row_shl:15
// GFX11: v_bfi_b32_e64_dpp v5, v1, v2, v3 row_shl:15 row_mask:0xf bank_mask:0xf ; encoding: [0x05,0x00,0x12,0xd6,0xfa,0x04,0x0e,0x04,0x01,0x0f,0x01,0xff]

v_bfi_b32_e64_dpp v5, v1, v2, v3 row_shr:1
// GFX11: v_bfi_b32_e64_dpp v5, v1, v2, v3 row_shr:1 row_mask:0xf bank_mask:0xf ; encoding: [0x05,0x00,0x12,0xd6,0xfa,0x04,0x0e,0x04,0x01,0x11,0x01,0xff]

v_bfi_b32_e64_dpp v5, v1, v2, v3 row_shr:15
// GFX11: v_bfi_b32_e64_dpp v5, v1, v2, v3 row_shr:15 row_mask:0xf bank_mask:0xf ; encoding: [0x05,0x00,0x12,0xd6,0xfa,0x04,0x0e,0x04,0x01,0x1f,0x01,0xff]

v_bfi_b32_e64_dpp v5, v1, v2, v3 row_xmask:0
// GFX11: v_bfi_b32_e64_dpp v5, v1, v2, v3 row_xmask:0 row_mask:0xf bank_mask:0xf ; encoding: [0x05,0x00,0x12,0xd6,0xfa,0x04,0x0e,0x04,0x01,0x60,0x01,0xff]

v_bfi_b32_e64_dpp v5, v1, v2, v3 row_xmask:15
// GFX11: v_bfi_b32_e64_dpp v5, v1, v2, v3 row_xmask:15 row_mask:0xf bank_mask:0xf ; encoding: [0x05,0x00,0x12,0xd6,0xfa,0x04,0x0e,0x04,0x01,0x6f,0x01,0xff]

v_bfi_b32_e64_dpp v5, v1, v2, v3 quad_perm:[3,2,1,0] fi:0
// GFX11: v_bfi_b32_e64_dpp v5, v1, v2, v3 quad_perm:[3,2,1,0] row_mask:0xf bank_mask:0xf ; encoding: [0x05,0x00,0x12,0xd6,0xfa,0x04,0x0e,0x04,0x01,0x1b,0x00,0xff]

v_bfi_b32_e64_dpp v5, v1, v2, v3 quad_perm:[3,2,1,0] fi:1
// GFX11: v_bfi_b32_e64_dpp v5, v1, v2, v3 quad_perm:[3,2,1,0] row_mask:0xf bank_mask:0xf fi:1 ; encoding: [0x05,0x00,0x12,0xd6,0xfa,0x04,0x0e,0x04,0x01,0x1b,0x04,0xff]

v_bfi_b32_e64_dpp v5, v1, v2, v3 quad_perm:[3,2,1,0] row_mask:0x0 bank_mask:0x1
// GFX11: v_bfi_b32_e64_dpp v5, v1, v2, v3 quad_perm:[3,2,1,0] row_mask:0x0 bank_mask:0x1 ; encoding: [0x05,0x00,0x12,0xd6,0xfa,0x04,0x0e,0x04,0x01,0x1b,0x00,0x01]

v_bfi_b32_e64_dpp v5, v1, v2, v3 quad_perm:[3,2,1,0] row_mask:0x3 bank_mask:0x0
// GFX11: v_bfi_b32_e64_dpp v5, v1, v2, v3 quad_perm:[3,2,1,0] row_mask:0x3 bank_mask:0x0 ; encoding: [0x05,0x00,0x12,0xd6,0xfa,0x04,0x0e,0x04,0x01,0x1b,0x00,0x30]
	;; [unrolled: 3-line block ×3, first 2 shown]

v_bfm_b32_e64_dpp v5, v1, v2 quad_perm:[3,2,1,0]
// GFX11: v_bfm_b32_e64_dpp v5, v1, v2 quad_perm:[3,2,1,0] row_mask:0xf bank_mask:0xf ; encoding: [0x05,0x00,0x1d,0xd7,0xfa,0x04,0x02,0x00,0x01,0x1b,0x00,0xff]

v_bfm_b32_e64_dpp v255, v255, v255 quad_perm:[3,2,1,0]
// GFX11: v_bfm_b32_e64_dpp v255, v255, v255 quad_perm:[3,2,1,0] row_mask:0xf bank_mask:0xf ; encoding: [0xff,0x00,0x1d,0xd7,0xfa,0xfe,0x03,0x00,0xff,0x1b,0x00,0xff]

v_bfm_b32_e64_dpp v5, v1, v2 quad_perm:[3,2,1,0] bound_ctrl:0
// GFX11: v_bfm_b32_e64_dpp v5, v1, v2 quad_perm:[3,2,1,0] row_mask:0xf bank_mask:0xf ; encoding: [0x05,0x00,0x1d,0xd7,0xfa,0x04,0x02,0x00,0x01,0x1b,0x00,0xff]

v_bfm_b32_e64_dpp v5, v1, v2 quad_perm:[3,2,1,0] bound_ctrl:1
// GFX11: v_bfm_b32_e64_dpp v5, v1, v2 quad_perm:[3,2,1,0] row_mask:0xf bank_mask:0xf bound_ctrl:1 ; encoding: [0x05,0x00,0x1d,0xd7,0xfa,0x04,0x02,0x00,0x01,0x1b,0x08,0xff]

v_bfm_b32_e64_dpp v5, v1, v2 quad_perm:[0,1,2,3]
// GFX11: v_bfm_b32_e64_dpp v5, v1, v2 quad_perm:[0,1,2,3] row_mask:0xf bank_mask:0xf ; encoding: [0x05,0x00,0x1d,0xd7,0xfa,0x04,0x02,0x00,0x01,0xe4,0x00,0xff]

v_bfm_b32_e64_dpp v5, v1, v2 row_half_mirror
// GFX11: v_bfm_b32_e64_dpp v5, v1, v2 row_half_mirror row_mask:0xf bank_mask:0xf ; encoding: [0x05,0x00,0x1d,0xd7,0xfa,0x04,0x02,0x00,0x01,0x41,0x01,0xff]

v_bfm_b32_e64_dpp v5, v1, v2 row_mirror
// GFX11: v_bfm_b32_e64_dpp v5, v1, v2 row_mirror row_mask:0xf bank_mask:0xf ; encoding: [0x05,0x00,0x1d,0xd7,0xfa,0x04,0x02,0x00,0x01,0x40,0x01,0xff]

v_bfm_b32_e64_dpp v5, v1, v2 row_ror:1
// GFX11: v_bfm_b32_e64_dpp v5, v1, v2 row_ror:1 row_mask:0xf bank_mask:0xf ; encoding: [0x05,0x00,0x1d,0xd7,0xfa,0x04,0x02,0x00,0x01,0x21,0x01,0xff]

v_bfm_b32_e64_dpp v5, v1, v2 row_ror:15
// GFX11: v_bfm_b32_e64_dpp v5, v1, v2 row_ror:15 row_mask:0xf bank_mask:0xf ; encoding: [0x05,0x00,0x1d,0xd7,0xfa,0x04,0x02,0x00,0x01,0x2f,0x01,0xff]

v_bfm_b32_e64_dpp v5, v1, v2 row_share:0
// GFX11: v_bfm_b32_e64_dpp v5, v1, v2 row_share:0 row_mask:0xf bank_mask:0xf ; encoding: [0x05,0x00,0x1d,0xd7,0xfa,0x04,0x02,0x00,0x01,0x50,0x01,0xff]

v_bfm_b32_e64_dpp v5, v1, v2 row_share:15
// GFX11: v_bfm_b32_e64_dpp v5, v1, v2 row_share:15 row_mask:0xf bank_mask:0xf ; encoding: [0x05,0x00,0x1d,0xd7,0xfa,0x04,0x02,0x00,0x01,0x5f,0x01,0xff]

v_bfm_b32_e64_dpp v5, v1, v2 row_shl:1
// GFX11: v_bfm_b32_e64_dpp v5, v1, v2 row_shl:1 row_mask:0xf bank_mask:0xf ; encoding: [0x05,0x00,0x1d,0xd7,0xfa,0x04,0x02,0x00,0x01,0x01,0x01,0xff]

v_bfm_b32_e64_dpp v5, v1, v2 row_shl:15
// GFX11: v_bfm_b32_e64_dpp v5, v1, v2 row_shl:15 row_mask:0xf bank_mask:0xf ; encoding: [0x05,0x00,0x1d,0xd7,0xfa,0x04,0x02,0x00,0x01,0x0f,0x01,0xff]

v_bfm_b32_e64_dpp v5, v1, v2 row_shr:1
// GFX11: v_bfm_b32_e64_dpp v5, v1, v2 row_shr:1 row_mask:0xf bank_mask:0xf ; encoding: [0x05,0x00,0x1d,0xd7,0xfa,0x04,0x02,0x00,0x01,0x11,0x01,0xff]

v_bfm_b32_e64_dpp v5, v1, v2 row_shr:15
// GFX11: v_bfm_b32_e64_dpp v5, v1, v2 row_shr:15 row_mask:0xf bank_mask:0xf ; encoding: [0x05,0x00,0x1d,0xd7,0xfa,0x04,0x02,0x00,0x01,0x1f,0x01,0xff]

v_bfm_b32_e64_dpp v5, v1, v2 row_xmask:0
// GFX11: v_bfm_b32_e64_dpp v5, v1, v2 row_xmask:0 row_mask:0xf bank_mask:0xf ; encoding: [0x05,0x00,0x1d,0xd7,0xfa,0x04,0x02,0x00,0x01,0x60,0x01,0xff]

v_bfm_b32_e64_dpp v5, v1, v2 row_xmask:15
// GFX11: v_bfm_b32_e64_dpp v5, v1, v2 row_xmask:15 row_mask:0xf bank_mask:0xf ; encoding: [0x05,0x00,0x1d,0xd7,0xfa,0x04,0x02,0x00,0x01,0x6f,0x01,0xff]

v_bfm_b32_e64_dpp v5, v1, v2 quad_perm:[3,2,1,0] fi:0
// GFX11: v_bfm_b32_e64_dpp v5, v1, v2 quad_perm:[3,2,1,0] row_mask:0xf bank_mask:0xf ; encoding: [0x05,0x00,0x1d,0xd7,0xfa,0x04,0x02,0x00,0x01,0x1b,0x00,0xff]

v_bfm_b32_e64_dpp v5, v1, v2 quad_perm:[3,2,1,0] fi:1
// GFX11: v_bfm_b32_e64_dpp v5, v1, v2 quad_perm:[3,2,1,0] row_mask:0xf bank_mask:0xf fi:1 ; encoding: [0x05,0x00,0x1d,0xd7,0xfa,0x04,0x02,0x00,0x01,0x1b,0x04,0xff]

v_bfm_b32_e64_dpp v5, v1, v2 quad_perm:[3,2,1,0] row_mask:0x0 bank_mask:0x1
// GFX11: v_bfm_b32_e64_dpp v5, v1, v2 quad_perm:[3,2,1,0] row_mask:0x0 bank_mask:0x1 ; encoding: [0x05,0x00,0x1d,0xd7,0xfa,0x04,0x02,0x00,0x01,0x1b,0x00,0x01]

v_bfm_b32_e64_dpp v5, v1, v2 quad_perm:[3,2,1,0] row_mask:0x3 bank_mask:0x0
// GFX11: v_bfm_b32_e64_dpp v5, v1, v2 quad_perm:[3,2,1,0] row_mask:0x3 bank_mask:0x0 ; encoding: [0x05,0x00,0x1d,0xd7,0xfa,0x04,0x02,0x00,0x01,0x1b,0x00,0x30]
	;; [unrolled: 3-line block ×3, first 2 shown]

v_cndmask_b16_e64_dpp v5.l, v1.l, v2.l, s3 quad_perm:[3,2,1,0]
// W32: v_cndmask_b16_e64_dpp v5.l, v1.l, v2.l, s3 quad_perm:[3,2,1,0] row_mask:0xf bank_mask:0xf ; encoding: [0x05,0x00,0x5d,0xd6,0xfa,0x04,0x0e,0x00,0x01,0x1b,0x00,0xff]
// W64-ERR: :[[@LINE-2]]:41: error: invalid operand for instruction

v_cndmask_b16_e64_dpp v255.l, v255.l, v255.l, null quad_perm:[3,2,1,0]
// GFX11: v_cndmask_b16_e64_dpp v255.l, v255.l, v255.l, null quad_perm:[3,2,1,0] row_mask:0xf bank_mask:0xf ; encoding: [0xff,0x00,0x5d,0xd6,0xfa,0xfe,0xf3,0x01,0xff,0x1b,0x00,0xff]

v_cndmask_b16_e64_dpp v5.l, -v7.l, v2.l, s3 quad_perm:[3,2,1,0]
// W32: v_cndmask_b16_e64_dpp v5.l, -v7.l, v2.l, s3 quad_perm:[3,2,1,0] row_mask:0xf bank_mask:0xf ; encoding: [0x05,0x00,0x5d,0xd6,0xfa,0x04,0x0e,0x20,0x07,0x1b,0x00,0xff]
// W64-ERR: :[[@LINE-2]]:42: error: invalid operand for instruction

v_cndmask_b16_e64_dpp v5.l, |v7.l|, v2.l, s3 quad_perm:[3,2,1,0]
// W32: v_cndmask_b16_e64_dpp v5.l, |v7.l|, v2.l, s3 quad_perm:[3,2,1,0] row_mask:0xf bank_mask:0xf ; encoding: [0x05,0x01,0x5d,0xd6,0xfa,0x04,0x0e,0x00,0x07,0x1b,0x00,0xff]
// W64-ERR: :[[@LINE-2]]:43: error: invalid operand for instruction

v_cndmask_b16_e64_dpp v5.l, -|v7.l|, v2.l, s3 quad_perm:[3,2,1,0]
// W32: v_cndmask_b16_e64_dpp v5.l, -|v7.l|, v2.l, s3 quad_perm:[3,2,1,0] row_mask:0xf bank_mask:0xf ; encoding: [0x05,0x01,0x5d,0xd6,0xfa,0x04,0x0e,0x20,0x07,0x1b,0x00,0xff]
// W64-ERR: :[[@LINE-2]]:44: error: invalid operand for instruction

v_cndmask_b16_e64_dpp v5.l, v1.l, -v7.l, s3 quad_perm:[3,2,1,0]
// W32: v_cndmask_b16_e64_dpp v5.l, v1.l, -v7.l, s3 quad_perm:[3,2,1,0] row_mask:0xf bank_mask:0xf ; encoding: [0x05,0x00,0x5d,0xd6,0xfa,0x0e,0x0e,0x40,0x01,0x1b,0x00,0xff]
// W64-ERR: :[[@LINE-2]]:42: error: invalid operand for instruction

v_cndmask_b16_e64_dpp v5.l, v1.l, |v7.l|, s3 quad_perm:[3,2,1,0]
// W32: v_cndmask_b16_e64_dpp v5.l, v1.l, |v7.l|, s3 quad_perm:[3,2,1,0] row_mask:0xf bank_mask:0xf ; encoding: [0x05,0x02,0x5d,0xd6,0xfa,0x0e,0x0e,0x00,0x01,0x1b,0x00,0xff]
// W64-ERR: :[[@LINE-2]]:43: error: invalid operand for instruction

v_cndmask_b16_e64_dpp v5.l, v1.l, -|v7.l|, s3 quad_perm:[3,2,1,0]
// W32: v_cndmask_b16_e64_dpp v5.l, v1.l, -|v7.l|, s3 quad_perm:[3,2,1,0] row_mask:0xf bank_mask:0xf ; encoding: [0x05,0x02,0x5d,0xd6,0xfa,0x0e,0x0e,0x40,0x01,0x1b,0x00,0xff]
// W64-ERR: :[[@LINE-2]]:44: error: invalid operand for instruction

v_cndmask_b16_e64_dpp v5.l, v1.l, v2.l, s6 quad_perm:[3,2,1,0]
// W32: v_cndmask_b16_e64_dpp v5.l, v1.l, v2.l, s6 quad_perm:[3,2,1,0] row_mask:0xf bank_mask:0xf ; encoding: [0x05,0x00,0x5d,0xd6,0xfa,0x04,0x1a,0x00,0x01,0x1b,0x00,0xff]
// W64-ERR: :[[@LINE-2]]:41: error: invalid operand for instruction

v_cndmask_b16_e64_dpp v5.l, v1.l, v2.l, s105 quad_perm:[3,2,1,0]
// W32: v_cndmask_b16_e64_dpp v5.l, v1.l, v2.l, s105 quad_perm:[3,2,1,0] row_mask:0xf bank_mask:0xf ; encoding: [0x05,0x00,0x5d,0xd6,0xfa,0x04,0xa6,0x01,0x01,0x1b,0x00,0xff]
// W64-ERR: :[[@LINE-2]]:41: error: invalid operand for instruction

v_cndmask_b16_e64_dpp v5.l, v1.l, v2.l, s[12:13] quad_perm:[3,2,1,0]
// W32-ERR: :[[@LINE-1]]:41: error: invalid operand for instruction
// W64: v_cndmask_b16_e64_dpp v5.l, v1.l, v2.l, s[12:13] quad_perm:[3,2,1,0] row_mask:0xf bank_mask:0xf ; encoding: [0x05,0x00,0x5d,0xd6,0xfa,0x04,0x32,0x00,0x01,0x1b,0x00,0xff]

v_cndmask_b16_e64_dpp v5.l, v1.l, v2.l, s[104:105] quad_perm:[3,2,1,0]
// W32-ERR: :[[@LINE-1]]:41: error: invalid operand for instruction
// W64: v_cndmask_b16_e64_dpp v5.l, v1.l, v2.l, s[104:105] quad_perm:[3,2,1,0] row_mask:0xf bank_mask:0xf ; encoding: [0x05,0x00,0x5d,0xd6,0xfa,0x04,0xa2,0x01,0x01,0x1b,0x00,0xff]

v_cndmask_b16_e64_dpp v5.l, v1.l, v2.l, vcc_lo quad_perm:[3,2,1,0]
// W32: v_cndmask_b16_e64_dpp v5.l, v1.l, v2.l, vcc_lo quad_perm:[3,2,1,0] row_mask:0xf bank_mask:0xf ; encoding: [0x05,0x00,0x5d,0xd6,0xfa,0x04,0xaa,0x01,0x01,0x1b,0x00,0xff]
// W64-ERR: :[[@LINE-2]]:41: error: invalid operand for instruction

v_cndmask_b16_e64_dpp v5.l, v1.l, v2.l, vcc_hi quad_perm:[3,2,1,0]
// W32: v_cndmask_b16_e64_dpp v5.l, v1.l, v2.l, vcc_hi quad_perm:[3,2,1,0] row_mask:0xf bank_mask:0xf ; encoding: [0x05,0x00,0x5d,0xd6,0xfa,0x04,0xae,0x01,0x01,0x1b,0x00,0xff]
// W64-ERR: :[[@LINE-2]]:41: error: invalid operand for instruction

v_cndmask_b16_e64_dpp v5.l, v1.l, v2.l, vcc quad_perm:[3,2,1,0]
// W32-ERR: :[[@LINE-1]]:41: error: invalid operand for instruction
// W64: v_cndmask_b16_e64_dpp v5.l, v1.l, v2.l, vcc quad_perm:[3,2,1,0] row_mask:0xf bank_mask:0xf ; encoding: [0x05,0x00,0x5d,0xd6,0xfa,0x04,0xaa,0x01,0x01,0x1b,0x00,0xff]

v_cndmask_b16_e64_dpp v5.l, v1.l, v2.l, ttmp15 quad_perm:[3,2,1,0]
// W32: v_cndmask_b16_e64_dpp v5.l, v1.l, v2.l, ttmp15 quad_perm:[3,2,1,0] row_mask:0xf bank_mask:0xf ; encoding: [0x05,0x00,0x5d,0xd6,0xfa,0x04,0xee,0x01,0x01,0x1b,0x00,0xff]
// W64-ERR: :[[@LINE-2]]:41: error: invalid operand for instruction

v_cndmask_b16_e64_dpp v5.l, v1.l, v2.l, ttmp[14:15] quad_perm:[3,2,1,0]
// W32-ERR: :[[@LINE-1]]:41: error: invalid operand for instruction
// W64: v_cndmask_b16_e64_dpp v5.l, v1.l, v2.l, ttmp[14:15] quad_perm:[3,2,1,0] row_mask:0xf bank_mask:0xf ; encoding: [0x05,0x00,0x5d,0xd6,0xfa,0x04,0xea,0x01,0x01,0x1b,0x00,0xff]

v_cndmask_b16_e64_dpp v5.l, v1.l, v2.l, null quad_perm:[3,2,1,0]
// GFX11: v_cndmask_b16_e64_dpp v5.l, v1.l, v2.l, null quad_perm:[3,2,1,0] row_mask:0xf bank_mask:0xf ; encoding: [0x05,0x00,0x5d,0xd6,0xfa,0x04,0xf2,0x01,0x01,0x1b,0x00,0xff]

v_cndmask_b16_e64_dpp v5.l, v1.l, v2.l, s3 quad_perm:[3,2,1,0] bound_ctrl:0
// W32: v_cndmask_b16_e64_dpp v5.l, v1.l, v2.l, s3 quad_perm:[3,2,1,0] row_mask:0xf bank_mask:0xf ; encoding: [0x05,0x00,0x5d,0xd6,0xfa,0x04,0x0e,0x00,0x01,0x1b,0x00,0xff]
// W64-ERR: :[[@LINE-2]]:41: error: invalid operand for instruction

v_cndmask_b16_e64_dpp v5.l, v1.l, v2.l, s3 quad_perm:[3,2,1,0] bound_ctrl:1
// W32: v_cndmask_b16_e64_dpp v5.l, v1.l, v2.l, s3 quad_perm:[3,2,1,0] row_mask:0xf bank_mask:0xf bound_ctrl:1 ; encoding: [0x05,0x00,0x5d,0xd6,0xfa,0x04,0x0e,0x00,0x01,0x1b,0x08,0xff]
// W64-ERR: :[[@LINE-2]]:41: error: invalid operand for instruction

v_cndmask_b16_e64_dpp v5.l, v1.l, v2.l, s3 quad_perm:[0,1,2,3]
// W32: v_cndmask_b16_e64_dpp v5.l, v1.l, v2.l, s3 quad_perm:[0,1,2,3] row_mask:0xf bank_mask:0xf ; encoding: [0x05,0x00,0x5d,0xd6,0xfa,0x04,0x0e,0x00,0x01,0xe4,0x00,0xff]
// W64-ERR: :[[@LINE-2]]:41: error: invalid operand for instruction

v_cndmask_b16_e64_dpp v5.l, v1.l, v2.l, s3 row_half_mirror
// W32: v_cndmask_b16_e64_dpp v5.l, v1.l, v2.l, s3 row_half_mirror row_mask:0xf bank_mask:0xf ; encoding: [0x05,0x00,0x5d,0xd6,0xfa,0x04,0x0e,0x00,0x01,0x41,0x01,0xff]
// W64-ERR: :[[@LINE-2]]:41: error: invalid operand for instruction

v_cndmask_b16_e64_dpp v5.l, v1.l, v2.l, s3 row_mirror
// W32: v_cndmask_b16_e64_dpp v5.l, v1.l, v2.l, s3 row_mirror row_mask:0xf bank_mask:0xf ; encoding: [0x05,0x00,0x5d,0xd6,0xfa,0x04,0x0e,0x00,0x01,0x40,0x01,0xff]
// W64-ERR: :[[@LINE-2]]:41: error: invalid operand for instruction

v_cndmask_b16_e64_dpp v5.l, v1.l, v2.l, s3 row_ror:1
// W32: v_cndmask_b16_e64_dpp v5.l, v1.l, v2.l, s3 row_ror:1 row_mask:0xf bank_mask:0xf ; encoding: [0x05,0x00,0x5d,0xd6,0xfa,0x04,0x0e,0x00,0x01,0x21,0x01,0xff]
// W64-ERR: :[[@LINE-2]]:41: error: invalid operand for instruction

v_cndmask_b16_e64_dpp v5.l, v1.l, v2.l, s3 row_ror:15
// W32: v_cndmask_b16_e64_dpp v5.l, v1.l, v2.l, s3 row_ror:15 row_mask:0xf bank_mask:0xf ; encoding: [0x05,0x00,0x5d,0xd6,0xfa,0x04,0x0e,0x00,0x01,0x2f,0x01,0xff]
// W64-ERR: :[[@LINE-2]]:41: error: invalid operand for instruction

v_cndmask_b16_e64_dpp v5.l, v1.l, v2.l, s3 row_share:0
// W32: v_cndmask_b16_e64_dpp v5.l, v1.l, v2.l, s3 row_share:0 row_mask:0xf bank_mask:0xf ; encoding: [0x05,0x00,0x5d,0xd6,0xfa,0x04,0x0e,0x00,0x01,0x50,0x01,0xff]
// W64-ERR: :[[@LINE-2]]:41: error: invalid operand for instruction

v_cndmask_b16_e64_dpp v5.l, v1.l, v2.l, s3 row_share:15
// W32: v_cndmask_b16_e64_dpp v5.l, v1.l, v2.l, s3 row_share:15 row_mask:0xf bank_mask:0xf ; encoding: [0x05,0x00,0x5d,0xd6,0xfa,0x04,0x0e,0x00,0x01,0x5f,0x01,0xff]
// W64-ERR: :[[@LINE-2]]:41: error: invalid operand for instruction

v_cndmask_b16_e64_dpp v5.l, v1.l, v2.l, s3 row_shl:1
// W32: v_cndmask_b16_e64_dpp v5.l, v1.l, v2.l, s3 row_shl:1 row_mask:0xf bank_mask:0xf ; encoding: [0x05,0x00,0x5d,0xd6,0xfa,0x04,0x0e,0x00,0x01,0x01,0x01,0xff]
// W64-ERR: :[[@LINE-2]]:41: error: invalid operand for instruction

v_cndmask_b16_e64_dpp v5.l, v1.l, v2.l, s3 row_shl:15
// W32: v_cndmask_b16_e64_dpp v5.l, v1.l, v2.l, s3 row_shl:15 row_mask:0xf bank_mask:0xf ; encoding: [0x05,0x00,0x5d,0xd6,0xfa,0x04,0x0e,0x00,0x01,0x0f,0x01,0xff]
// W64-ERR: :[[@LINE-2]]:41: error: invalid operand for instruction

v_cndmask_b16_e64_dpp v5.l, v1.l, v2.l, s3 row_shr:1
// W32: v_cndmask_b16_e64_dpp v5.l, v1.l, v2.l, s3 row_shr:1 row_mask:0xf bank_mask:0xf ; encoding: [0x05,0x00,0x5d,0xd6,0xfa,0x04,0x0e,0x00,0x01,0x11,0x01,0xff]
// W64-ERR: :[[@LINE-2]]:41: error: invalid operand for instruction

v_cndmask_b16_e64_dpp v5.l, v1.l, v2.l, s3 row_shr:15
// W32: v_cndmask_b16_e64_dpp v5.l, v1.l, v2.l, s3 row_shr:15 row_mask:0xf bank_mask:0xf ; encoding: [0x05,0x00,0x5d,0xd6,0xfa,0x04,0x0e,0x00,0x01,0x1f,0x01,0xff]
// W64-ERR: :[[@LINE-2]]:41: error: invalid operand for instruction

v_cndmask_b16_e64_dpp v5.l, v1.l, v2.l, s3 row_xmask:0
// W32: v_cndmask_b16_e64_dpp v5.l, v1.l, v2.l, s3 row_xmask:0 row_mask:0xf bank_mask:0xf ; encoding: [0x05,0x00,0x5d,0xd6,0xfa,0x04,0x0e,0x00,0x01,0x60,0x01,0xff]
// W64-ERR: :[[@LINE-2]]:41: error: invalid operand for instruction

v_cndmask_b16_e64_dpp v5.l, v1.l, v2.l, s3 row_xmask:15
// W32: v_cndmask_b16_e64_dpp v5.l, v1.l, v2.l, s3 row_xmask:15 row_mask:0xf bank_mask:0xf ; encoding: [0x05,0x00,0x5d,0xd6,0xfa,0x04,0x0e,0x00,0x01,0x6f,0x01,0xff]
// W64-ERR: :[[@LINE-2]]:41: error: invalid operand for instruction

v_cndmask_b16_e64_dpp v5.l, v1.l, v2.l, s3 quad_perm:[3,2,1,0] fi:0
// W32: v_cndmask_b16_e64_dpp v5.l, v1.l, v2.l, s3 quad_perm:[3,2,1,0] row_mask:0xf bank_mask:0xf ; encoding: [0x05,0x00,0x5d,0xd6,0xfa,0x04,0x0e,0x00,0x01,0x1b,0x00,0xff]
// W64-ERR: :[[@LINE-2]]:41: error: invalid operand for instruction

v_cndmask_b16_e64_dpp v5.l, v1.l, v2.l, s3 quad_perm:[3,2,1,0] fi:1
// W32: v_cndmask_b16_e64_dpp v5.l, v1.l, v2.l, s3 quad_perm:[3,2,1,0] row_mask:0xf bank_mask:0xf fi:1 ; encoding: [0x05,0x00,0x5d,0xd6,0xfa,0x04,0x0e,0x00,0x01,0x1b,0x04,0xff]
// W64-ERR: :[[@LINE-2]]:41: error: invalid operand for instruction

v_cndmask_b16_e64_dpp v5.l, v1.l, v2.l, s3 quad_perm:[3,2,1,0] row_mask:0x0 bank_mask:0x1
// W32: v_cndmask_b16_e64_dpp v5.l, v1.l, v2.l, s3 quad_perm:[3,2,1,0] row_mask:0x0 bank_mask:0x1 ; encoding: [0x05,0x00,0x5d,0xd6,0xfa,0x04,0x0e,0x00,0x01,0x1b,0x00,0x01]
// W64-ERR: :[[@LINE-2]]:41: error: invalid operand for instruction

v_cndmask_b16_e64_dpp v5.l, v1.l, v2.l, s3 quad_perm:[3,2,1,0] row_mask:0x3 bank_mask:0x0
// W32: v_cndmask_b16_e64_dpp v5.l, v1.l, v2.l, s3 quad_perm:[3,2,1,0] row_mask:0x3 bank_mask:0x0 ; encoding: [0x05,0x00,0x5d,0xd6,0xfa,0x04,0x0e,0x00,0x01,0x1b,0x00,0x30]
	;; [unrolled: 4-line block ×3, first 2 shown]
// W64-ERR: :[[@LINE-2]]:41: error: invalid operand for instruction

v_cubeid_f32_e64_dpp v5, v1, v2, v3 quad_perm:[3,2,1,0]
// GFX11: v_cubeid_f32_e64_dpp v5, v1, v2, v3 quad_perm:[3,2,1,0] row_mask:0xf bank_mask:0xf ; encoding: [0x05,0x00,0x0c,0xd6,0xfa,0x04,0x0e,0x04,0x01,0x1b,0x00,0xff]

v_cubeid_f32_e64_dpp v255, v255, v255, v255 quad_perm:[3,2,1,0]
// GFX11: v_cubeid_f32_e64_dpp v255, v255, v255, v255 quad_perm:[3,2,1,0] row_mask:0xf bank_mask:0xf ; encoding: [0xff,0x00,0x0c,0xd6,0xfa,0xfe,0xff,0x07,0xff,0x1b,0x00,0xff]

v_cubeid_f32_e64_dpp v5, -v7, v2, v3 quad_perm:[3,2,1,0]
// GFX11: v_cubeid_f32_e64_dpp v5, -v7, v2, v3 quad_perm:[3,2,1,0] row_mask:0xf bank_mask:0xf ; encoding: [0x05,0x00,0x0c,0xd6,0xfa,0x04,0x0e,0x24,0x07,0x1b,0x00,0xff]

v_cubeid_f32_e64_dpp v5, |v7|, v2, v3 quad_perm:[3,2,1,0]
// GFX11: v_cubeid_f32_e64_dpp v5, |v7|, v2, v3 quad_perm:[3,2,1,0] row_mask:0xf bank_mask:0xf ; encoding: [0x05,0x01,0x0c,0xd6,0xfa,0x04,0x0e,0x04,0x07,0x1b,0x00,0xff]

v_cubeid_f32_e64_dpp v5, -|v7|, v2, v3 quad_perm:[3,2,1,0]
// GFX11: v_cubeid_f32_e64_dpp v5, -|v7|, v2, v3 quad_perm:[3,2,1,0] row_mask:0xf bank_mask:0xf ; encoding: [0x05,0x01,0x0c,0xd6,0xfa,0x04,0x0e,0x24,0x07,0x1b,0x00,0xff]

v_cubeid_f32_e64_dpp v5, v1, -v7, v3 quad_perm:[3,2,1,0]
// GFX11: v_cubeid_f32_e64_dpp v5, v1, -v7, v3 quad_perm:[3,2,1,0] row_mask:0xf bank_mask:0xf ; encoding: [0x05,0x00,0x0c,0xd6,0xfa,0x0e,0x0e,0x44,0x01,0x1b,0x00,0xff]

v_cubeid_f32_e64_dpp v5, v1, |v7|, v3 quad_perm:[3,2,1,0]
// GFX11: v_cubeid_f32_e64_dpp v5, v1, |v7|, v3 quad_perm:[3,2,1,0] row_mask:0xf bank_mask:0xf ; encoding: [0x05,0x02,0x0c,0xd6,0xfa,0x0e,0x0e,0x04,0x01,0x1b,0x00,0xff]

v_cubeid_f32_e64_dpp v5, v1, -|v7|, v3 quad_perm:[3,2,1,0]
// GFX11: v_cubeid_f32_e64_dpp v5, v1, -|v7|, v3 quad_perm:[3,2,1,0] row_mask:0xf bank_mask:0xf ; encoding: [0x05,0x02,0x0c,0xd6,0xfa,0x0e,0x0e,0x44,0x01,0x1b,0x00,0xff]

v_cubeid_f32_e64_dpp v5, v1, v2, -1 quad_perm:[3,2,1,0]
// GFX11: v_cubeid_f32_e64_dpp v5, v1, v2, -1 quad_perm:[3,2,1,0] row_mask:0xf bank_mask:0xf ; encoding: [0x05,0x00,0x0c,0xd6,0xfa,0x04,0x06,0x03,0x01,0x1b,0x00,0xff]

v_cubeid_f32_e64_dpp v5, v1, v2, 0.5 quad_perm:[3,2,1,0]
// GFX11: v_cubeid_f32_e64_dpp v5, v1, v2, 0.5 quad_perm:[3,2,1,0] row_mask:0xf bank_mask:0xf ; encoding: [0x05,0x00,0x0c,0xd6,0xfa,0x04,0xc2,0x03,0x01,0x1b,0x00,0xff]

v_cubeid_f32_e64_dpp v5, v1, v2, exec_hi quad_perm:[3,2,1,0]
// GFX11: v_cubeid_f32_e64_dpp v5, v1, v2, exec_hi quad_perm:[3,2,1,0] row_mask:0xf bank_mask:0xf ; encoding: [0x05,0x00,0x0c,0xd6,0xfa,0x04,0xfe,0x01,0x01,0x1b,0x00,0xff]

v_cubeid_f32_e64_dpp v5, v1, v2, exec_lo quad_perm:[3,2,1,0]
// GFX11: v_cubeid_f32_e64_dpp v5, v1, v2, exec_lo quad_perm:[3,2,1,0] row_mask:0xf bank_mask:0xf ; encoding: [0x05,0x00,0x0c,0xd6,0xfa,0x04,0xfa,0x01,0x01,0x1b,0x00,0xff]

v_cubeid_f32_e64_dpp v5, v1, v2, m0 quad_perm:[3,2,1,0]
// GFX11: v_cubeid_f32_e64_dpp v5, v1, v2, m0 quad_perm:[3,2,1,0] row_mask:0xf bank_mask:0xf ; encoding: [0x05,0x00,0x0c,0xd6,0xfa,0x04,0xf6,0x01,0x01,0x1b,0x00,0xff]

v_cubeid_f32_e64_dpp v5, v1, v2, null quad_perm:[3,2,1,0]
// GFX11: v_cubeid_f32_e64_dpp v5, v1, v2, null quad_perm:[3,2,1,0] row_mask:0xf bank_mask:0xf ; encoding: [0x05,0x00,0x0c,0xd6,0xfa,0x04,0xf2,0x01,0x01,0x1b,0x00,0xff]

v_cubeid_f32_e64_dpp v5, v1, v2, s105 quad_perm:[3,2,1,0]
// GFX11: v_cubeid_f32_e64_dpp v5, v1, v2, s105 quad_perm:[3,2,1,0] row_mask:0xf bank_mask:0xf ; encoding: [0x05,0x00,0x0c,0xd6,0xfa,0x04,0xa6,0x01,0x01,0x1b,0x00,0xff]

v_cubeid_f32_e64_dpp v5, v1, v2, s3 quad_perm:[3,2,1,0]
// GFX11: v_cubeid_f32_e64_dpp v5, v1, v2, s3 quad_perm:[3,2,1,0] row_mask:0xf bank_mask:0xf ; encoding: [0x05,0x00,0x0c,0xd6,0xfa,0x04,0x0e,0x00,0x01,0x1b,0x00,0xff]

v_cubeid_f32_e64_dpp v5, v1, v2, src_scc quad_perm:[3,2,1,0]
// GFX11: v_cubeid_f32_e64_dpp v5, v1, v2, src_scc quad_perm:[3,2,1,0] row_mask:0xf bank_mask:0xf ; encoding: [0x05,0x00,0x0c,0xd6,0xfa,0x04,0xf6,0x03,0x01,0x1b,0x00,0xff]

v_cubeid_f32_e64_dpp v5, v1, v2, ttmp15 quad_perm:[3,2,1,0]
// GFX11: v_cubeid_f32_e64_dpp v5, v1, v2, ttmp15 quad_perm:[3,2,1,0] row_mask:0xf bank_mask:0xf ; encoding: [0x05,0x00,0x0c,0xd6,0xfa,0x04,0xee,0x01,0x01,0x1b,0x00,0xff]

v_cubeid_f32_e64_dpp v5, v1, v2, v255 quad_perm:[3,2,1,0]
// GFX11: v_cubeid_f32_e64_dpp v5, v1, v2, v255 quad_perm:[3,2,1,0] row_mask:0xf bank_mask:0xf ; encoding: [0x05,0x00,0x0c,0xd6,0xfa,0x04,0xfe,0x07,0x01,0x1b,0x00,0xff]

v_cubeid_f32_e64_dpp v5, v1, v2, vcc_hi quad_perm:[3,2,1,0]
// GFX11: v_cubeid_f32_e64_dpp v5, v1, v2, vcc_hi quad_perm:[3,2,1,0] row_mask:0xf bank_mask:0xf ; encoding: [0x05,0x00,0x0c,0xd6,0xfa,0x04,0xae,0x01,0x01,0x1b,0x00,0xff]

v_cubeid_f32_e64_dpp v5, v1, v2, vcc_lo quad_perm:[3,2,1,0]
// GFX11: v_cubeid_f32_e64_dpp v5, v1, v2, vcc_lo quad_perm:[3,2,1,0] row_mask:0xf bank_mask:0xf ; encoding: [0x05,0x00,0x0c,0xd6,0xfa,0x04,0xaa,0x01,0x01,0x1b,0x00,0xff]

v_cubeid_f32_e64_dpp v5, v1, v2, -|0.5| quad_perm:[3,2,1,0]
// GFX11: v_cubeid_f32_e64_dpp v5, v1, v2, -|0.5| quad_perm:[3,2,1,0] row_mask:0xf bank_mask:0xf ; encoding: [0x05,0x04,0x0c,0xd6,0xfa,0x04,0xc2,0x83,0x01,0x1b,0x00,0xff]

v_cubeid_f32_e64_dpp v5, v1, v2, v3 quad_perm:[3,2,1,0] bound_ctrl:0
// GFX11: v_cubeid_f32_e64_dpp v5, v1, v2, v3 quad_perm:[3,2,1,0] row_mask:0xf bank_mask:0xf ; encoding: [0x05,0x00,0x0c,0xd6,0xfa,0x04,0x0e,0x04,0x01,0x1b,0x00,0xff]

v_cubeid_f32_e64_dpp v5, v1, v2, v3 quad_perm:[3,2,1,0] bound_ctrl:1
// GFX11: v_cubeid_f32_e64_dpp v5, v1, v2, v3 quad_perm:[3,2,1,0] row_mask:0xf bank_mask:0xf bound_ctrl:1 ; encoding: [0x05,0x00,0x0c,0xd6,0xfa,0x04,0x0e,0x04,0x01,0x1b,0x08,0xff]

v_cubeid_f32_e64_dpp v5, v1, v2, v3 quad_perm:[0,1,2,3]
// GFX11: v_cubeid_f32_e64_dpp v5, v1, v2, v3 quad_perm:[0,1,2,3] row_mask:0xf bank_mask:0xf ; encoding: [0x05,0x00,0x0c,0xd6,0xfa,0x04,0x0e,0x04,0x01,0xe4,0x00,0xff]

v_cubeid_f32_e64_dpp v5, v1, v2, v3 row_half_mirror
// GFX11: v_cubeid_f32_e64_dpp v5, v1, v2, v3 row_half_mirror row_mask:0xf bank_mask:0xf ; encoding: [0x05,0x00,0x0c,0xd6,0xfa,0x04,0x0e,0x04,0x01,0x41,0x01,0xff]

v_cubeid_f32_e64_dpp v5, v1, v2, v3 row_mirror
// GFX11: v_cubeid_f32_e64_dpp v5, v1, v2, v3 row_mirror row_mask:0xf bank_mask:0xf ; encoding: [0x05,0x00,0x0c,0xd6,0xfa,0x04,0x0e,0x04,0x01,0x40,0x01,0xff]

v_cubeid_f32_e64_dpp v5, v1, v2, v3 row_ror:1
// GFX11: v_cubeid_f32_e64_dpp v5, v1, v2, v3 row_ror:1 row_mask:0xf bank_mask:0xf ; encoding: [0x05,0x00,0x0c,0xd6,0xfa,0x04,0x0e,0x04,0x01,0x21,0x01,0xff]

v_cubeid_f32_e64_dpp v5, v1, v2, v3 row_ror:15
// GFX11: v_cubeid_f32_e64_dpp v5, v1, v2, v3 row_ror:15 row_mask:0xf bank_mask:0xf ; encoding: [0x05,0x00,0x0c,0xd6,0xfa,0x04,0x0e,0x04,0x01,0x2f,0x01,0xff]

v_cubeid_f32_e64_dpp v5, v1, v2, v3 row_share:0
// GFX11: v_cubeid_f32_e64_dpp v5, v1, v2, v3 row_share:0 row_mask:0xf bank_mask:0xf ; encoding: [0x05,0x00,0x0c,0xd6,0xfa,0x04,0x0e,0x04,0x01,0x50,0x01,0xff]

v_cubeid_f32_e64_dpp v5, v1, v2, v3 row_share:15
// GFX11: v_cubeid_f32_e64_dpp v5, v1, v2, v3 row_share:15 row_mask:0xf bank_mask:0xf ; encoding: [0x05,0x00,0x0c,0xd6,0xfa,0x04,0x0e,0x04,0x01,0x5f,0x01,0xff]

v_cubeid_f32_e64_dpp v5, v1, v2, v3 row_shl:1
// GFX11: v_cubeid_f32_e64_dpp v5, v1, v2, v3 row_shl:1 row_mask:0xf bank_mask:0xf ; encoding: [0x05,0x00,0x0c,0xd6,0xfa,0x04,0x0e,0x04,0x01,0x01,0x01,0xff]

v_cubeid_f32_e64_dpp v5, v1, v2, v3 row_shl:15
// GFX11: v_cubeid_f32_e64_dpp v5, v1, v2, v3 row_shl:15 row_mask:0xf bank_mask:0xf ; encoding: [0x05,0x00,0x0c,0xd6,0xfa,0x04,0x0e,0x04,0x01,0x0f,0x01,0xff]

v_cubeid_f32_e64_dpp v5, v1, v2, v3 row_shr:1
// GFX11: v_cubeid_f32_e64_dpp v5, v1, v2, v3 row_shr:1 row_mask:0xf bank_mask:0xf ; encoding: [0x05,0x00,0x0c,0xd6,0xfa,0x04,0x0e,0x04,0x01,0x11,0x01,0xff]

v_cubeid_f32_e64_dpp v5, v1, v2, v3 row_shr:15
// GFX11: v_cubeid_f32_e64_dpp v5, v1, v2, v3 row_shr:15 row_mask:0xf bank_mask:0xf ; encoding: [0x05,0x00,0x0c,0xd6,0xfa,0x04,0x0e,0x04,0x01,0x1f,0x01,0xff]

v_cubeid_f32_e64_dpp v5, v1, v2, v3 row_xmask:0
// GFX11: v_cubeid_f32_e64_dpp v5, v1, v2, v3 row_xmask:0 row_mask:0xf bank_mask:0xf ; encoding: [0x05,0x00,0x0c,0xd6,0xfa,0x04,0x0e,0x04,0x01,0x60,0x01,0xff]

v_cubeid_f32_e64_dpp v5, v1, v2, v3 row_xmask:15
// GFX11: v_cubeid_f32_e64_dpp v5, v1, v2, v3 row_xmask:15 row_mask:0xf bank_mask:0xf ; encoding: [0x05,0x00,0x0c,0xd6,0xfa,0x04,0x0e,0x04,0x01,0x6f,0x01,0xff]

v_cubeid_f32_e64_dpp v5, v1, v2, v3 quad_perm:[3,2,1,0] fi:0
// GFX11: v_cubeid_f32_e64_dpp v5, v1, v2, v3 quad_perm:[3,2,1,0] row_mask:0xf bank_mask:0xf ; encoding: [0x05,0x00,0x0c,0xd6,0xfa,0x04,0x0e,0x04,0x01,0x1b,0x00,0xff]

v_cubeid_f32_e64_dpp v5, v1, v2, v3 quad_perm:[3,2,1,0] fi:1
// GFX11: v_cubeid_f32_e64_dpp v5, v1, v2, v3 quad_perm:[3,2,1,0] row_mask:0xf bank_mask:0xf fi:1 ; encoding: [0x05,0x00,0x0c,0xd6,0xfa,0x04,0x0e,0x04,0x01,0x1b,0x04,0xff]

v_cubeid_f32_e64_dpp v5, v1, v2, v3 div:2 quad_perm:[3,2,1,0]
// GFX11: v_cubeid_f32_e64_dpp v5, v1, v2, v3 div:2 quad_perm:[3,2,1,0] row_mask:0xf bank_mask:0xf ; encoding: [0x05,0x00,0x0c,0xd6,0xfa,0x04,0x0e,0x1c,0x01,0x1b,0x00,0xff]

v_cubeid_f32_e64_dpp v5, v1, v2, v3 mul:2 quad_perm:[3,2,1,0]
// GFX11: v_cubeid_f32_e64_dpp v5, v1, v2, v3 mul:2 quad_perm:[3,2,1,0] row_mask:0xf bank_mask:0xf ; encoding: [0x05,0x00,0x0c,0xd6,0xfa,0x04,0x0e,0x0c,0x01,0x1b,0x00,0xff]

v_cubeid_f32_e64_dpp v5, v1, v2, v3 mul:4 quad_perm:[3,2,1,0]
// GFX11: v_cubeid_f32_e64_dpp v5, v1, v2, v3 mul:4 quad_perm:[3,2,1,0] row_mask:0xf bank_mask:0xf ; encoding: [0x05,0x00,0x0c,0xd6,0xfa,0x04,0x0e,0x14,0x01,0x1b,0x00,0xff]

v_cubeid_f32_e64_dpp v5, v1, v2, v3 quad_perm:[3,2,1,0] row_mask:0x0 bank_mask:0x1
// GFX11: v_cubeid_f32_e64_dpp v5, v1, v2, v3 quad_perm:[3,2,1,0] row_mask:0x0 bank_mask:0x1 ; encoding: [0x05,0x00,0x0c,0xd6,0xfa,0x04,0x0e,0x04,0x01,0x1b,0x00,0x01]

v_cubeid_f32_e64_dpp v5, v1, v2, v3 quad_perm:[3,2,1,0] row_mask:0x3 bank_mask:0x0
// GFX11: v_cubeid_f32_e64_dpp v5, v1, v2, v3 quad_perm:[3,2,1,0] row_mask:0x3 bank_mask:0x0 ; encoding: [0x05,0x00,0x0c,0xd6,0xfa,0x04,0x0e,0x04,0x01,0x1b,0x00,0x30]
	;; [unrolled: 3-line block ×3, first 2 shown]

v_cubeid_f32_e64_dpp v5, v1, v2, v3 clamp quad_perm:[3,2,1,0]
// GFX11: v_cubeid_f32_e64_dpp v5, v1, v2, v3 clamp quad_perm:[3,2,1,0] row_mask:0xf bank_mask:0xf ; encoding: [0x05,0x80,0x0c,0xd6,0xfa,0x04,0x0e,0x04,0x01,0x1b,0x00,0xff]

v_cubema_f32_e64_dpp v5, v1, v2, v3 quad_perm:[3,2,1,0]
// GFX11: v_cubema_f32_e64_dpp v5, v1, v2, v3 quad_perm:[3,2,1,0] row_mask:0xf bank_mask:0xf ; encoding: [0x05,0x00,0x0f,0xd6,0xfa,0x04,0x0e,0x04,0x01,0x1b,0x00,0xff]

v_cubema_f32_e64_dpp v255, v255, v255, v255 quad_perm:[3,2,1,0]
// GFX11: v_cubema_f32_e64_dpp v255, v255, v255, v255 quad_perm:[3,2,1,0] row_mask:0xf bank_mask:0xf ; encoding: [0xff,0x00,0x0f,0xd6,0xfa,0xfe,0xff,0x07,0xff,0x1b,0x00,0xff]

v_cubema_f32_e64_dpp v5, -v7, v2, v3 quad_perm:[3,2,1,0]
// GFX11: v_cubema_f32_e64_dpp v5, -v7, v2, v3 quad_perm:[3,2,1,0] row_mask:0xf bank_mask:0xf ; encoding: [0x05,0x00,0x0f,0xd6,0xfa,0x04,0x0e,0x24,0x07,0x1b,0x00,0xff]

v_cubema_f32_e64_dpp v5, |v7|, v2, v3 quad_perm:[3,2,1,0]
// GFX11: v_cubema_f32_e64_dpp v5, |v7|, v2, v3 quad_perm:[3,2,1,0] row_mask:0xf bank_mask:0xf ; encoding: [0x05,0x01,0x0f,0xd6,0xfa,0x04,0x0e,0x04,0x07,0x1b,0x00,0xff]

v_cubema_f32_e64_dpp v5, -|v7|, v2, v3 quad_perm:[3,2,1,0]
// GFX11: v_cubema_f32_e64_dpp v5, -|v7|, v2, v3 quad_perm:[3,2,1,0] row_mask:0xf bank_mask:0xf ; encoding: [0x05,0x01,0x0f,0xd6,0xfa,0x04,0x0e,0x24,0x07,0x1b,0x00,0xff]

v_cubema_f32_e64_dpp v5, v1, -v7, v3 quad_perm:[3,2,1,0]
// GFX11: v_cubema_f32_e64_dpp v5, v1, -v7, v3 quad_perm:[3,2,1,0] row_mask:0xf bank_mask:0xf ; encoding: [0x05,0x00,0x0f,0xd6,0xfa,0x0e,0x0e,0x44,0x01,0x1b,0x00,0xff]

v_cubema_f32_e64_dpp v5, v1, |v7|, v3 quad_perm:[3,2,1,0]
// GFX11: v_cubema_f32_e64_dpp v5, v1, |v7|, v3 quad_perm:[3,2,1,0] row_mask:0xf bank_mask:0xf ; encoding: [0x05,0x02,0x0f,0xd6,0xfa,0x0e,0x0e,0x04,0x01,0x1b,0x00,0xff]

v_cubema_f32_e64_dpp v5, v1, -|v7|, v3 quad_perm:[3,2,1,0]
// GFX11: v_cubema_f32_e64_dpp v5, v1, -|v7|, v3 quad_perm:[3,2,1,0] row_mask:0xf bank_mask:0xf ; encoding: [0x05,0x02,0x0f,0xd6,0xfa,0x0e,0x0e,0x44,0x01,0x1b,0x00,0xff]

v_cubema_f32_e64_dpp v5, v1, v2, -1 quad_perm:[3,2,1,0]
// GFX11: v_cubema_f32_e64_dpp v5, v1, v2, -1 quad_perm:[3,2,1,0] row_mask:0xf bank_mask:0xf ; encoding: [0x05,0x00,0x0f,0xd6,0xfa,0x04,0x06,0x03,0x01,0x1b,0x00,0xff]

v_cubema_f32_e64_dpp v5, v1, v2, 0.5 quad_perm:[3,2,1,0]
// GFX11: v_cubema_f32_e64_dpp v5, v1, v2, 0.5 quad_perm:[3,2,1,0] row_mask:0xf bank_mask:0xf ; encoding: [0x05,0x00,0x0f,0xd6,0xfa,0x04,0xc2,0x03,0x01,0x1b,0x00,0xff]

v_cubema_f32_e64_dpp v5, v1, v2, exec_hi quad_perm:[3,2,1,0]
// GFX11: v_cubema_f32_e64_dpp v5, v1, v2, exec_hi quad_perm:[3,2,1,0] row_mask:0xf bank_mask:0xf ; encoding: [0x05,0x00,0x0f,0xd6,0xfa,0x04,0xfe,0x01,0x01,0x1b,0x00,0xff]

v_cubema_f32_e64_dpp v5, v1, v2, exec_lo quad_perm:[3,2,1,0]
// GFX11: v_cubema_f32_e64_dpp v5, v1, v2, exec_lo quad_perm:[3,2,1,0] row_mask:0xf bank_mask:0xf ; encoding: [0x05,0x00,0x0f,0xd6,0xfa,0x04,0xfa,0x01,0x01,0x1b,0x00,0xff]

v_cubema_f32_e64_dpp v5, v1, v2, m0 quad_perm:[3,2,1,0]
// GFX11: v_cubema_f32_e64_dpp v5, v1, v2, m0 quad_perm:[3,2,1,0] row_mask:0xf bank_mask:0xf ; encoding: [0x05,0x00,0x0f,0xd6,0xfa,0x04,0xf6,0x01,0x01,0x1b,0x00,0xff]

v_cubema_f32_e64_dpp v5, v1, v2, null quad_perm:[3,2,1,0]
// GFX11: v_cubema_f32_e64_dpp v5, v1, v2, null quad_perm:[3,2,1,0] row_mask:0xf bank_mask:0xf ; encoding: [0x05,0x00,0x0f,0xd6,0xfa,0x04,0xf2,0x01,0x01,0x1b,0x00,0xff]

v_cubema_f32_e64_dpp v5, v1, v2, s105 quad_perm:[3,2,1,0]
// GFX11: v_cubema_f32_e64_dpp v5, v1, v2, s105 quad_perm:[3,2,1,0] row_mask:0xf bank_mask:0xf ; encoding: [0x05,0x00,0x0f,0xd6,0xfa,0x04,0xa6,0x01,0x01,0x1b,0x00,0xff]

v_cubema_f32_e64_dpp v5, v1, v2, s3 quad_perm:[3,2,1,0]
// GFX11: v_cubema_f32_e64_dpp v5, v1, v2, s3 quad_perm:[3,2,1,0] row_mask:0xf bank_mask:0xf ; encoding: [0x05,0x00,0x0f,0xd6,0xfa,0x04,0x0e,0x00,0x01,0x1b,0x00,0xff]

v_cubema_f32_e64_dpp v5, v1, v2, src_scc quad_perm:[3,2,1,0]
// GFX11: v_cubema_f32_e64_dpp v5, v1, v2, src_scc quad_perm:[3,2,1,0] row_mask:0xf bank_mask:0xf ; encoding: [0x05,0x00,0x0f,0xd6,0xfa,0x04,0xf6,0x03,0x01,0x1b,0x00,0xff]

v_cubema_f32_e64_dpp v5, v1, v2, ttmp15 quad_perm:[3,2,1,0]
// GFX11: v_cubema_f32_e64_dpp v5, v1, v2, ttmp15 quad_perm:[3,2,1,0] row_mask:0xf bank_mask:0xf ; encoding: [0x05,0x00,0x0f,0xd6,0xfa,0x04,0xee,0x01,0x01,0x1b,0x00,0xff]

v_cubema_f32_e64_dpp v5, v1, v2, v255 quad_perm:[3,2,1,0]
// GFX11: v_cubema_f32_e64_dpp v5, v1, v2, v255 quad_perm:[3,2,1,0] row_mask:0xf bank_mask:0xf ; encoding: [0x05,0x00,0x0f,0xd6,0xfa,0x04,0xfe,0x07,0x01,0x1b,0x00,0xff]

v_cubema_f32_e64_dpp v5, v1, v2, vcc_hi quad_perm:[3,2,1,0]
// GFX11: v_cubema_f32_e64_dpp v5, v1, v2, vcc_hi quad_perm:[3,2,1,0] row_mask:0xf bank_mask:0xf ; encoding: [0x05,0x00,0x0f,0xd6,0xfa,0x04,0xae,0x01,0x01,0x1b,0x00,0xff]

v_cubema_f32_e64_dpp v5, v1, v2, vcc_lo quad_perm:[3,2,1,0]
// GFX11: v_cubema_f32_e64_dpp v5, v1, v2, vcc_lo quad_perm:[3,2,1,0] row_mask:0xf bank_mask:0xf ; encoding: [0x05,0x00,0x0f,0xd6,0xfa,0x04,0xaa,0x01,0x01,0x1b,0x00,0xff]

v_cubema_f32_e64_dpp v5, v1, v2, -|0.5| quad_perm:[3,2,1,0]
// GFX11: v_cubema_f32_e64_dpp v5, v1, v2, -|0.5| quad_perm:[3,2,1,0] row_mask:0xf bank_mask:0xf ; encoding: [0x05,0x04,0x0f,0xd6,0xfa,0x04,0xc2,0x83,0x01,0x1b,0x00,0xff]

v_cubema_f32_e64_dpp v5, v1, v2, v3 quad_perm:[3,2,1,0] bound_ctrl:0
// GFX11: v_cubema_f32_e64_dpp v5, v1, v2, v3 quad_perm:[3,2,1,0] row_mask:0xf bank_mask:0xf ; encoding: [0x05,0x00,0x0f,0xd6,0xfa,0x04,0x0e,0x04,0x01,0x1b,0x00,0xff]

v_cubema_f32_e64_dpp v5, v1, v2, v3 quad_perm:[3,2,1,0] bound_ctrl:1
// GFX11: v_cubema_f32_e64_dpp v5, v1, v2, v3 quad_perm:[3,2,1,0] row_mask:0xf bank_mask:0xf bound_ctrl:1 ; encoding: [0x05,0x00,0x0f,0xd6,0xfa,0x04,0x0e,0x04,0x01,0x1b,0x08,0xff]

v_cubema_f32_e64_dpp v5, v1, v2, v3 quad_perm:[0,1,2,3]
// GFX11: v_cubema_f32_e64_dpp v5, v1, v2, v3 quad_perm:[0,1,2,3] row_mask:0xf bank_mask:0xf ; encoding: [0x05,0x00,0x0f,0xd6,0xfa,0x04,0x0e,0x04,0x01,0xe4,0x00,0xff]

v_cubema_f32_e64_dpp v5, v1, v2, v3 row_half_mirror
// GFX11: v_cubema_f32_e64_dpp v5, v1, v2, v3 row_half_mirror row_mask:0xf bank_mask:0xf ; encoding: [0x05,0x00,0x0f,0xd6,0xfa,0x04,0x0e,0x04,0x01,0x41,0x01,0xff]

v_cubema_f32_e64_dpp v5, v1, v2, v3 row_mirror
// GFX11: v_cubema_f32_e64_dpp v5, v1, v2, v3 row_mirror row_mask:0xf bank_mask:0xf ; encoding: [0x05,0x00,0x0f,0xd6,0xfa,0x04,0x0e,0x04,0x01,0x40,0x01,0xff]

v_cubema_f32_e64_dpp v5, v1, v2, v3 row_ror:1
// GFX11: v_cubema_f32_e64_dpp v5, v1, v2, v3 row_ror:1 row_mask:0xf bank_mask:0xf ; encoding: [0x05,0x00,0x0f,0xd6,0xfa,0x04,0x0e,0x04,0x01,0x21,0x01,0xff]

v_cubema_f32_e64_dpp v5, v1, v2, v3 row_ror:15
// GFX11: v_cubema_f32_e64_dpp v5, v1, v2, v3 row_ror:15 row_mask:0xf bank_mask:0xf ; encoding: [0x05,0x00,0x0f,0xd6,0xfa,0x04,0x0e,0x04,0x01,0x2f,0x01,0xff]

v_cubema_f32_e64_dpp v5, v1, v2, v3 row_share:0
// GFX11: v_cubema_f32_e64_dpp v5, v1, v2, v3 row_share:0 row_mask:0xf bank_mask:0xf ; encoding: [0x05,0x00,0x0f,0xd6,0xfa,0x04,0x0e,0x04,0x01,0x50,0x01,0xff]

v_cubema_f32_e64_dpp v5, v1, v2, v3 row_share:15
// GFX11: v_cubema_f32_e64_dpp v5, v1, v2, v3 row_share:15 row_mask:0xf bank_mask:0xf ; encoding: [0x05,0x00,0x0f,0xd6,0xfa,0x04,0x0e,0x04,0x01,0x5f,0x01,0xff]

v_cubema_f32_e64_dpp v5, v1, v2, v3 row_shl:1
// GFX11: v_cubema_f32_e64_dpp v5, v1, v2, v3 row_shl:1 row_mask:0xf bank_mask:0xf ; encoding: [0x05,0x00,0x0f,0xd6,0xfa,0x04,0x0e,0x04,0x01,0x01,0x01,0xff]

v_cubema_f32_e64_dpp v5, v1, v2, v3 row_shl:15
// GFX11: v_cubema_f32_e64_dpp v5, v1, v2, v3 row_shl:15 row_mask:0xf bank_mask:0xf ; encoding: [0x05,0x00,0x0f,0xd6,0xfa,0x04,0x0e,0x04,0x01,0x0f,0x01,0xff]

v_cubema_f32_e64_dpp v5, v1, v2, v3 row_shr:1
// GFX11: v_cubema_f32_e64_dpp v5, v1, v2, v3 row_shr:1 row_mask:0xf bank_mask:0xf ; encoding: [0x05,0x00,0x0f,0xd6,0xfa,0x04,0x0e,0x04,0x01,0x11,0x01,0xff]

v_cubema_f32_e64_dpp v5, v1, v2, v3 row_shr:15
// GFX11: v_cubema_f32_e64_dpp v5, v1, v2, v3 row_shr:15 row_mask:0xf bank_mask:0xf ; encoding: [0x05,0x00,0x0f,0xd6,0xfa,0x04,0x0e,0x04,0x01,0x1f,0x01,0xff]

v_cubema_f32_e64_dpp v5, v1, v2, v3 row_xmask:0
// GFX11: v_cubema_f32_e64_dpp v5, v1, v2, v3 row_xmask:0 row_mask:0xf bank_mask:0xf ; encoding: [0x05,0x00,0x0f,0xd6,0xfa,0x04,0x0e,0x04,0x01,0x60,0x01,0xff]

v_cubema_f32_e64_dpp v5, v1, v2, v3 row_xmask:15
// GFX11: v_cubema_f32_e64_dpp v5, v1, v2, v3 row_xmask:15 row_mask:0xf bank_mask:0xf ; encoding: [0x05,0x00,0x0f,0xd6,0xfa,0x04,0x0e,0x04,0x01,0x6f,0x01,0xff]

v_cubema_f32_e64_dpp v5, v1, v2, v3 quad_perm:[3,2,1,0] fi:0
// GFX11: v_cubema_f32_e64_dpp v5, v1, v2, v3 quad_perm:[3,2,1,0] row_mask:0xf bank_mask:0xf ; encoding: [0x05,0x00,0x0f,0xd6,0xfa,0x04,0x0e,0x04,0x01,0x1b,0x00,0xff]

v_cubema_f32_e64_dpp v5, v1, v2, v3 quad_perm:[3,2,1,0] fi:1
// GFX11: v_cubema_f32_e64_dpp v5, v1, v2, v3 quad_perm:[3,2,1,0] row_mask:0xf bank_mask:0xf fi:1 ; encoding: [0x05,0x00,0x0f,0xd6,0xfa,0x04,0x0e,0x04,0x01,0x1b,0x04,0xff]

v_cubema_f32_e64_dpp v5, v1, v2, v3 div:2 quad_perm:[3,2,1,0]
// GFX11: v_cubema_f32_e64_dpp v5, v1, v2, v3 div:2 quad_perm:[3,2,1,0] row_mask:0xf bank_mask:0xf ; encoding: [0x05,0x00,0x0f,0xd6,0xfa,0x04,0x0e,0x1c,0x01,0x1b,0x00,0xff]

v_cubema_f32_e64_dpp v5, v1, v2, v3 mul:2 quad_perm:[3,2,1,0]
// GFX11: v_cubema_f32_e64_dpp v5, v1, v2, v3 mul:2 quad_perm:[3,2,1,0] row_mask:0xf bank_mask:0xf ; encoding: [0x05,0x00,0x0f,0xd6,0xfa,0x04,0x0e,0x0c,0x01,0x1b,0x00,0xff]

v_cubema_f32_e64_dpp v5, v1, v2, v3 mul:4 quad_perm:[3,2,1,0]
// GFX11: v_cubema_f32_e64_dpp v5, v1, v2, v3 mul:4 quad_perm:[3,2,1,0] row_mask:0xf bank_mask:0xf ; encoding: [0x05,0x00,0x0f,0xd6,0xfa,0x04,0x0e,0x14,0x01,0x1b,0x00,0xff]

v_cubema_f32_e64_dpp v5, v1, v2, v3 quad_perm:[3,2,1,0] row_mask:0x0 bank_mask:0x1
// GFX11: v_cubema_f32_e64_dpp v5, v1, v2, v3 quad_perm:[3,2,1,0] row_mask:0x0 bank_mask:0x1 ; encoding: [0x05,0x00,0x0f,0xd6,0xfa,0x04,0x0e,0x04,0x01,0x1b,0x00,0x01]

v_cubema_f32_e64_dpp v5, v1, v2, v3 quad_perm:[3,2,1,0] row_mask:0x3 bank_mask:0x0
// GFX11: v_cubema_f32_e64_dpp v5, v1, v2, v3 quad_perm:[3,2,1,0] row_mask:0x3 bank_mask:0x0 ; encoding: [0x05,0x00,0x0f,0xd6,0xfa,0x04,0x0e,0x04,0x01,0x1b,0x00,0x30]

v_cubema_f32_e64_dpp v5, v1, v2, v3 quad_perm:[3,2,1,0] row_mask:0xf bank_mask:0xf
// GFX11: v_cubema_f32_e64_dpp v5, v1, v2, v3 quad_perm:[3,2,1,0] row_mask:0xf bank_mask:0xf ; encoding: [0x05,0x00,0x0f,0xd6,0xfa,0x04,0x0e,0x04,0x01,0x1b,0x00,0xff]

v_cubema_f32_e64_dpp v5, v1, v2, v3 clamp quad_perm:[3,2,1,0]
// GFX11: v_cubema_f32_e64_dpp v5, v1, v2, v3 clamp quad_perm:[3,2,1,0] row_mask:0xf bank_mask:0xf ; encoding: [0x05,0x80,0x0f,0xd6,0xfa,0x04,0x0e,0x04,0x01,0x1b,0x00,0xff]

v_cubesc_f32_e64_dpp v5, v1, v2, v3 quad_perm:[3,2,1,0]
// GFX11: v_cubesc_f32_e64_dpp v5, v1, v2, v3 quad_perm:[3,2,1,0] row_mask:0xf bank_mask:0xf ; encoding: [0x05,0x00,0x0d,0xd6,0xfa,0x04,0x0e,0x04,0x01,0x1b,0x00,0xff]

v_cubesc_f32_e64_dpp v255, v255, v255, v255 quad_perm:[3,2,1,0]
// GFX11: v_cubesc_f32_e64_dpp v255, v255, v255, v255 quad_perm:[3,2,1,0] row_mask:0xf bank_mask:0xf ; encoding: [0xff,0x00,0x0d,0xd6,0xfa,0xfe,0xff,0x07,0xff,0x1b,0x00,0xff]

v_cubesc_f32_e64_dpp v5, -v7, v2, v3 quad_perm:[3,2,1,0]
// GFX11: v_cubesc_f32_e64_dpp v5, -v7, v2, v3 quad_perm:[3,2,1,0] row_mask:0xf bank_mask:0xf ; encoding: [0x05,0x00,0x0d,0xd6,0xfa,0x04,0x0e,0x24,0x07,0x1b,0x00,0xff]

v_cubesc_f32_e64_dpp v5, |v7|, v2, v3 quad_perm:[3,2,1,0]
// GFX11: v_cubesc_f32_e64_dpp v5, |v7|, v2, v3 quad_perm:[3,2,1,0] row_mask:0xf bank_mask:0xf ; encoding: [0x05,0x01,0x0d,0xd6,0xfa,0x04,0x0e,0x04,0x07,0x1b,0x00,0xff]

v_cubesc_f32_e64_dpp v5, -|v7|, v2, v3 quad_perm:[3,2,1,0]
// GFX11: v_cubesc_f32_e64_dpp v5, -|v7|, v2, v3 quad_perm:[3,2,1,0] row_mask:0xf bank_mask:0xf ; encoding: [0x05,0x01,0x0d,0xd6,0xfa,0x04,0x0e,0x24,0x07,0x1b,0x00,0xff]

v_cubesc_f32_e64_dpp v5, v1, -v7, v3 quad_perm:[3,2,1,0]
// GFX11: v_cubesc_f32_e64_dpp v5, v1, -v7, v3 quad_perm:[3,2,1,0] row_mask:0xf bank_mask:0xf ; encoding: [0x05,0x00,0x0d,0xd6,0xfa,0x0e,0x0e,0x44,0x01,0x1b,0x00,0xff]

v_cubesc_f32_e64_dpp v5, v1, |v7|, v3 quad_perm:[3,2,1,0]
// GFX11: v_cubesc_f32_e64_dpp v5, v1, |v7|, v3 quad_perm:[3,2,1,0] row_mask:0xf bank_mask:0xf ; encoding: [0x05,0x02,0x0d,0xd6,0xfa,0x0e,0x0e,0x04,0x01,0x1b,0x00,0xff]

v_cubesc_f32_e64_dpp v5, v1, -|v7|, v3 quad_perm:[3,2,1,0]
// GFX11: v_cubesc_f32_e64_dpp v5, v1, -|v7|, v3 quad_perm:[3,2,1,0] row_mask:0xf bank_mask:0xf ; encoding: [0x05,0x02,0x0d,0xd6,0xfa,0x0e,0x0e,0x44,0x01,0x1b,0x00,0xff]

v_cubesc_f32_e64_dpp v5, v1, v2, -1 quad_perm:[3,2,1,0]
// GFX11: v_cubesc_f32_e64_dpp v5, v1, v2, -1 quad_perm:[3,2,1,0] row_mask:0xf bank_mask:0xf ; encoding: [0x05,0x00,0x0d,0xd6,0xfa,0x04,0x06,0x03,0x01,0x1b,0x00,0xff]

v_cubesc_f32_e64_dpp v5, v1, v2, 0.5 quad_perm:[3,2,1,0]
// GFX11: v_cubesc_f32_e64_dpp v5, v1, v2, 0.5 quad_perm:[3,2,1,0] row_mask:0xf bank_mask:0xf ; encoding: [0x05,0x00,0x0d,0xd6,0xfa,0x04,0xc2,0x03,0x01,0x1b,0x00,0xff]

v_cubesc_f32_e64_dpp v5, v1, v2, exec_hi quad_perm:[3,2,1,0]
// GFX11: v_cubesc_f32_e64_dpp v5, v1, v2, exec_hi quad_perm:[3,2,1,0] row_mask:0xf bank_mask:0xf ; encoding: [0x05,0x00,0x0d,0xd6,0xfa,0x04,0xfe,0x01,0x01,0x1b,0x00,0xff]

v_cubesc_f32_e64_dpp v5, v1, v2, exec_lo quad_perm:[3,2,1,0]
// GFX11: v_cubesc_f32_e64_dpp v5, v1, v2, exec_lo quad_perm:[3,2,1,0] row_mask:0xf bank_mask:0xf ; encoding: [0x05,0x00,0x0d,0xd6,0xfa,0x04,0xfa,0x01,0x01,0x1b,0x00,0xff]

v_cubesc_f32_e64_dpp v5, v1, v2, m0 quad_perm:[3,2,1,0]
// GFX11: v_cubesc_f32_e64_dpp v5, v1, v2, m0 quad_perm:[3,2,1,0] row_mask:0xf bank_mask:0xf ; encoding: [0x05,0x00,0x0d,0xd6,0xfa,0x04,0xf6,0x01,0x01,0x1b,0x00,0xff]

v_cubesc_f32_e64_dpp v5, v1, v2, null quad_perm:[3,2,1,0]
// GFX11: v_cubesc_f32_e64_dpp v5, v1, v2, null quad_perm:[3,2,1,0] row_mask:0xf bank_mask:0xf ; encoding: [0x05,0x00,0x0d,0xd6,0xfa,0x04,0xf2,0x01,0x01,0x1b,0x00,0xff]

v_cubesc_f32_e64_dpp v5, v1, v2, s105 quad_perm:[3,2,1,0]
// GFX11: v_cubesc_f32_e64_dpp v5, v1, v2, s105 quad_perm:[3,2,1,0] row_mask:0xf bank_mask:0xf ; encoding: [0x05,0x00,0x0d,0xd6,0xfa,0x04,0xa6,0x01,0x01,0x1b,0x00,0xff]

v_cubesc_f32_e64_dpp v5, v1, v2, s3 quad_perm:[3,2,1,0]
// GFX11: v_cubesc_f32_e64_dpp v5, v1, v2, s3 quad_perm:[3,2,1,0] row_mask:0xf bank_mask:0xf ; encoding: [0x05,0x00,0x0d,0xd6,0xfa,0x04,0x0e,0x00,0x01,0x1b,0x00,0xff]

v_cubesc_f32_e64_dpp v5, v1, v2, src_scc quad_perm:[3,2,1,0]
// GFX11: v_cubesc_f32_e64_dpp v5, v1, v2, src_scc quad_perm:[3,2,1,0] row_mask:0xf bank_mask:0xf ; encoding: [0x05,0x00,0x0d,0xd6,0xfa,0x04,0xf6,0x03,0x01,0x1b,0x00,0xff]

v_cubesc_f32_e64_dpp v5, v1, v2, ttmp15 quad_perm:[3,2,1,0]
// GFX11: v_cubesc_f32_e64_dpp v5, v1, v2, ttmp15 quad_perm:[3,2,1,0] row_mask:0xf bank_mask:0xf ; encoding: [0x05,0x00,0x0d,0xd6,0xfa,0x04,0xee,0x01,0x01,0x1b,0x00,0xff]

v_cubesc_f32_e64_dpp v5, v1, v2, v255 quad_perm:[3,2,1,0]
// GFX11: v_cubesc_f32_e64_dpp v5, v1, v2, v255 quad_perm:[3,2,1,0] row_mask:0xf bank_mask:0xf ; encoding: [0x05,0x00,0x0d,0xd6,0xfa,0x04,0xfe,0x07,0x01,0x1b,0x00,0xff]

v_cubesc_f32_e64_dpp v5, v1, v2, vcc_hi quad_perm:[3,2,1,0]
// GFX11: v_cubesc_f32_e64_dpp v5, v1, v2, vcc_hi quad_perm:[3,2,1,0] row_mask:0xf bank_mask:0xf ; encoding: [0x05,0x00,0x0d,0xd6,0xfa,0x04,0xae,0x01,0x01,0x1b,0x00,0xff]

v_cubesc_f32_e64_dpp v5, v1, v2, vcc_lo quad_perm:[3,2,1,0]
// GFX11: v_cubesc_f32_e64_dpp v5, v1, v2, vcc_lo quad_perm:[3,2,1,0] row_mask:0xf bank_mask:0xf ; encoding: [0x05,0x00,0x0d,0xd6,0xfa,0x04,0xaa,0x01,0x01,0x1b,0x00,0xff]

v_cubesc_f32_e64_dpp v5, v1, v2, -|0.5| quad_perm:[3,2,1,0]
// GFX11: v_cubesc_f32_e64_dpp v5, v1, v2, -|0.5| quad_perm:[3,2,1,0] row_mask:0xf bank_mask:0xf ; encoding: [0x05,0x04,0x0d,0xd6,0xfa,0x04,0xc2,0x83,0x01,0x1b,0x00,0xff]

v_cubesc_f32_e64_dpp v5, v1, v2, v3 quad_perm:[3,2,1,0] bound_ctrl:0
// GFX11: v_cubesc_f32_e64_dpp v5, v1, v2, v3 quad_perm:[3,2,1,0] row_mask:0xf bank_mask:0xf ; encoding: [0x05,0x00,0x0d,0xd6,0xfa,0x04,0x0e,0x04,0x01,0x1b,0x00,0xff]

v_cubesc_f32_e64_dpp v5, v1, v2, v3 quad_perm:[3,2,1,0] bound_ctrl:1
// GFX11: v_cubesc_f32_e64_dpp v5, v1, v2, v3 quad_perm:[3,2,1,0] row_mask:0xf bank_mask:0xf bound_ctrl:1 ; encoding: [0x05,0x00,0x0d,0xd6,0xfa,0x04,0x0e,0x04,0x01,0x1b,0x08,0xff]

v_cubesc_f32_e64_dpp v5, v1, v2, v3 quad_perm:[0,1,2,3]
// GFX11: v_cubesc_f32_e64_dpp v5, v1, v2, v3 quad_perm:[0,1,2,3] row_mask:0xf bank_mask:0xf ; encoding: [0x05,0x00,0x0d,0xd6,0xfa,0x04,0x0e,0x04,0x01,0xe4,0x00,0xff]

v_cubesc_f32_e64_dpp v5, v1, v2, v3 row_half_mirror
// GFX11: v_cubesc_f32_e64_dpp v5, v1, v2, v3 row_half_mirror row_mask:0xf bank_mask:0xf ; encoding: [0x05,0x00,0x0d,0xd6,0xfa,0x04,0x0e,0x04,0x01,0x41,0x01,0xff]

v_cubesc_f32_e64_dpp v5, v1, v2, v3 row_mirror
// GFX11: v_cubesc_f32_e64_dpp v5, v1, v2, v3 row_mirror row_mask:0xf bank_mask:0xf ; encoding: [0x05,0x00,0x0d,0xd6,0xfa,0x04,0x0e,0x04,0x01,0x40,0x01,0xff]

v_cubesc_f32_e64_dpp v5, v1, v2, v3 row_ror:1
// GFX11: v_cubesc_f32_e64_dpp v5, v1, v2, v3 row_ror:1 row_mask:0xf bank_mask:0xf ; encoding: [0x05,0x00,0x0d,0xd6,0xfa,0x04,0x0e,0x04,0x01,0x21,0x01,0xff]

v_cubesc_f32_e64_dpp v5, v1, v2, v3 row_ror:15
// GFX11: v_cubesc_f32_e64_dpp v5, v1, v2, v3 row_ror:15 row_mask:0xf bank_mask:0xf ; encoding: [0x05,0x00,0x0d,0xd6,0xfa,0x04,0x0e,0x04,0x01,0x2f,0x01,0xff]

v_cubesc_f32_e64_dpp v5, v1, v2, v3 row_share:0
// GFX11: v_cubesc_f32_e64_dpp v5, v1, v2, v3 row_share:0 row_mask:0xf bank_mask:0xf ; encoding: [0x05,0x00,0x0d,0xd6,0xfa,0x04,0x0e,0x04,0x01,0x50,0x01,0xff]

v_cubesc_f32_e64_dpp v5, v1, v2, v3 row_share:15
// GFX11: v_cubesc_f32_e64_dpp v5, v1, v2, v3 row_share:15 row_mask:0xf bank_mask:0xf ; encoding: [0x05,0x00,0x0d,0xd6,0xfa,0x04,0x0e,0x04,0x01,0x5f,0x01,0xff]

v_cubesc_f32_e64_dpp v5, v1, v2, v3 row_shl:1
// GFX11: v_cubesc_f32_e64_dpp v5, v1, v2, v3 row_shl:1 row_mask:0xf bank_mask:0xf ; encoding: [0x05,0x00,0x0d,0xd6,0xfa,0x04,0x0e,0x04,0x01,0x01,0x01,0xff]

v_cubesc_f32_e64_dpp v5, v1, v2, v3 row_shl:15
// GFX11: v_cubesc_f32_e64_dpp v5, v1, v2, v3 row_shl:15 row_mask:0xf bank_mask:0xf ; encoding: [0x05,0x00,0x0d,0xd6,0xfa,0x04,0x0e,0x04,0x01,0x0f,0x01,0xff]

v_cubesc_f32_e64_dpp v5, v1, v2, v3 row_shr:1
// GFX11: v_cubesc_f32_e64_dpp v5, v1, v2, v3 row_shr:1 row_mask:0xf bank_mask:0xf ; encoding: [0x05,0x00,0x0d,0xd6,0xfa,0x04,0x0e,0x04,0x01,0x11,0x01,0xff]

v_cubesc_f32_e64_dpp v5, v1, v2, v3 row_shr:15
// GFX11: v_cubesc_f32_e64_dpp v5, v1, v2, v3 row_shr:15 row_mask:0xf bank_mask:0xf ; encoding: [0x05,0x00,0x0d,0xd6,0xfa,0x04,0x0e,0x04,0x01,0x1f,0x01,0xff]

v_cubesc_f32_e64_dpp v5, v1, v2, v3 row_xmask:0
// GFX11: v_cubesc_f32_e64_dpp v5, v1, v2, v3 row_xmask:0 row_mask:0xf bank_mask:0xf ; encoding: [0x05,0x00,0x0d,0xd6,0xfa,0x04,0x0e,0x04,0x01,0x60,0x01,0xff]

v_cubesc_f32_e64_dpp v5, v1, v2, v3 row_xmask:15
// GFX11: v_cubesc_f32_e64_dpp v5, v1, v2, v3 row_xmask:15 row_mask:0xf bank_mask:0xf ; encoding: [0x05,0x00,0x0d,0xd6,0xfa,0x04,0x0e,0x04,0x01,0x6f,0x01,0xff]

v_cubesc_f32_e64_dpp v5, v1, v2, v3 quad_perm:[3,2,1,0] fi:0
// GFX11: v_cubesc_f32_e64_dpp v5, v1, v2, v3 quad_perm:[3,2,1,0] row_mask:0xf bank_mask:0xf ; encoding: [0x05,0x00,0x0d,0xd6,0xfa,0x04,0x0e,0x04,0x01,0x1b,0x00,0xff]

v_cubesc_f32_e64_dpp v5, v1, v2, v3 quad_perm:[3,2,1,0] fi:1
// GFX11: v_cubesc_f32_e64_dpp v5, v1, v2, v3 quad_perm:[3,2,1,0] row_mask:0xf bank_mask:0xf fi:1 ; encoding: [0x05,0x00,0x0d,0xd6,0xfa,0x04,0x0e,0x04,0x01,0x1b,0x04,0xff]

v_cubesc_f32_e64_dpp v5, v1, v2, v3 div:2 quad_perm:[3,2,1,0]
// GFX11: v_cubesc_f32_e64_dpp v5, v1, v2, v3 div:2 quad_perm:[3,2,1,0] row_mask:0xf bank_mask:0xf ; encoding: [0x05,0x00,0x0d,0xd6,0xfa,0x04,0x0e,0x1c,0x01,0x1b,0x00,0xff]

v_cubesc_f32_e64_dpp v5, v1, v2, v3 mul:2 quad_perm:[3,2,1,0]
// GFX11: v_cubesc_f32_e64_dpp v5, v1, v2, v3 mul:2 quad_perm:[3,2,1,0] row_mask:0xf bank_mask:0xf ; encoding: [0x05,0x00,0x0d,0xd6,0xfa,0x04,0x0e,0x0c,0x01,0x1b,0x00,0xff]

v_cubesc_f32_e64_dpp v5, v1, v2, v3 mul:4 quad_perm:[3,2,1,0]
// GFX11: v_cubesc_f32_e64_dpp v5, v1, v2, v3 mul:4 quad_perm:[3,2,1,0] row_mask:0xf bank_mask:0xf ; encoding: [0x05,0x00,0x0d,0xd6,0xfa,0x04,0x0e,0x14,0x01,0x1b,0x00,0xff]

v_cubesc_f32_e64_dpp v5, v1, v2, v3 quad_perm:[3,2,1,0] row_mask:0x0 bank_mask:0x1
// GFX11: v_cubesc_f32_e64_dpp v5, v1, v2, v3 quad_perm:[3,2,1,0] row_mask:0x0 bank_mask:0x1 ; encoding: [0x05,0x00,0x0d,0xd6,0xfa,0x04,0x0e,0x04,0x01,0x1b,0x00,0x01]

v_cubesc_f32_e64_dpp v5, v1, v2, v3 quad_perm:[3,2,1,0] row_mask:0x3 bank_mask:0x0
// GFX11: v_cubesc_f32_e64_dpp v5, v1, v2, v3 quad_perm:[3,2,1,0] row_mask:0x3 bank_mask:0x0 ; encoding: [0x05,0x00,0x0d,0xd6,0xfa,0x04,0x0e,0x04,0x01,0x1b,0x00,0x30]

v_cubesc_f32_e64_dpp v5, v1, v2, v3 quad_perm:[3,2,1,0] row_mask:0xf bank_mask:0xf
// GFX11: v_cubesc_f32_e64_dpp v5, v1, v2, v3 quad_perm:[3,2,1,0] row_mask:0xf bank_mask:0xf ; encoding: [0x05,0x00,0x0d,0xd6,0xfa,0x04,0x0e,0x04,0x01,0x1b,0x00,0xff]

v_cubesc_f32_e64_dpp v5, v1, v2, v3 clamp quad_perm:[3,2,1,0]
// GFX11: v_cubesc_f32_e64_dpp v5, v1, v2, v3 clamp quad_perm:[3,2,1,0] row_mask:0xf bank_mask:0xf ; encoding: [0x05,0x80,0x0d,0xd6,0xfa,0x04,0x0e,0x04,0x01,0x1b,0x00,0xff]

v_cubetc_f32_e64_dpp v5, v1, v2, v3 quad_perm:[3,2,1,0]
// GFX11: v_cubetc_f32_e64_dpp v5, v1, v2, v3 quad_perm:[3,2,1,0] row_mask:0xf bank_mask:0xf ; encoding: [0x05,0x00,0x0e,0xd6,0xfa,0x04,0x0e,0x04,0x01,0x1b,0x00,0xff]

v_cubetc_f32_e64_dpp v255, v255, v255, v255 quad_perm:[3,2,1,0]
// GFX11: v_cubetc_f32_e64_dpp v255, v255, v255, v255 quad_perm:[3,2,1,0] row_mask:0xf bank_mask:0xf ; encoding: [0xff,0x00,0x0e,0xd6,0xfa,0xfe,0xff,0x07,0xff,0x1b,0x00,0xff]

v_cubetc_f32_e64_dpp v5, -v7, v2, v3 quad_perm:[3,2,1,0]
// GFX11: v_cubetc_f32_e64_dpp v5, -v7, v2, v3 quad_perm:[3,2,1,0] row_mask:0xf bank_mask:0xf ; encoding: [0x05,0x00,0x0e,0xd6,0xfa,0x04,0x0e,0x24,0x07,0x1b,0x00,0xff]

v_cubetc_f32_e64_dpp v5, |v7|, v2, v3 quad_perm:[3,2,1,0]
// GFX11: v_cubetc_f32_e64_dpp v5, |v7|, v2, v3 quad_perm:[3,2,1,0] row_mask:0xf bank_mask:0xf ; encoding: [0x05,0x01,0x0e,0xd6,0xfa,0x04,0x0e,0x04,0x07,0x1b,0x00,0xff]

v_cubetc_f32_e64_dpp v5, -|v7|, v2, v3 quad_perm:[3,2,1,0]
// GFX11: v_cubetc_f32_e64_dpp v5, -|v7|, v2, v3 quad_perm:[3,2,1,0] row_mask:0xf bank_mask:0xf ; encoding: [0x05,0x01,0x0e,0xd6,0xfa,0x04,0x0e,0x24,0x07,0x1b,0x00,0xff]

v_cubetc_f32_e64_dpp v5, v1, -v7, v3 quad_perm:[3,2,1,0]
// GFX11: v_cubetc_f32_e64_dpp v5, v1, -v7, v3 quad_perm:[3,2,1,0] row_mask:0xf bank_mask:0xf ; encoding: [0x05,0x00,0x0e,0xd6,0xfa,0x0e,0x0e,0x44,0x01,0x1b,0x00,0xff]

v_cubetc_f32_e64_dpp v5, v1, |v7|, v3 quad_perm:[3,2,1,0]
// GFX11: v_cubetc_f32_e64_dpp v5, v1, |v7|, v3 quad_perm:[3,2,1,0] row_mask:0xf bank_mask:0xf ; encoding: [0x05,0x02,0x0e,0xd6,0xfa,0x0e,0x0e,0x04,0x01,0x1b,0x00,0xff]

v_cubetc_f32_e64_dpp v5, v1, -|v7|, v3 quad_perm:[3,2,1,0]
// GFX11: v_cubetc_f32_e64_dpp v5, v1, -|v7|, v3 quad_perm:[3,2,1,0] row_mask:0xf bank_mask:0xf ; encoding: [0x05,0x02,0x0e,0xd6,0xfa,0x0e,0x0e,0x44,0x01,0x1b,0x00,0xff]

v_cubetc_f32_e64_dpp v5, v1, v2, -1 quad_perm:[3,2,1,0]
// GFX11: v_cubetc_f32_e64_dpp v5, v1, v2, -1 quad_perm:[3,2,1,0] row_mask:0xf bank_mask:0xf ; encoding: [0x05,0x00,0x0e,0xd6,0xfa,0x04,0x06,0x03,0x01,0x1b,0x00,0xff]

v_cubetc_f32_e64_dpp v5, v1, v2, 0.5 quad_perm:[3,2,1,0]
// GFX11: v_cubetc_f32_e64_dpp v5, v1, v2, 0.5 quad_perm:[3,2,1,0] row_mask:0xf bank_mask:0xf ; encoding: [0x05,0x00,0x0e,0xd6,0xfa,0x04,0xc2,0x03,0x01,0x1b,0x00,0xff]

v_cubetc_f32_e64_dpp v5, v1, v2, exec_hi quad_perm:[3,2,1,0]
// GFX11: v_cubetc_f32_e64_dpp v5, v1, v2, exec_hi quad_perm:[3,2,1,0] row_mask:0xf bank_mask:0xf ; encoding: [0x05,0x00,0x0e,0xd6,0xfa,0x04,0xfe,0x01,0x01,0x1b,0x00,0xff]

v_cubetc_f32_e64_dpp v5, v1, v2, exec_lo quad_perm:[3,2,1,0]
// GFX11: v_cubetc_f32_e64_dpp v5, v1, v2, exec_lo quad_perm:[3,2,1,0] row_mask:0xf bank_mask:0xf ; encoding: [0x05,0x00,0x0e,0xd6,0xfa,0x04,0xfa,0x01,0x01,0x1b,0x00,0xff]

v_cubetc_f32_e64_dpp v5, v1, v2, m0 quad_perm:[3,2,1,0]
// GFX11: v_cubetc_f32_e64_dpp v5, v1, v2, m0 quad_perm:[3,2,1,0] row_mask:0xf bank_mask:0xf ; encoding: [0x05,0x00,0x0e,0xd6,0xfa,0x04,0xf6,0x01,0x01,0x1b,0x00,0xff]

v_cubetc_f32_e64_dpp v5, v1, v2, null quad_perm:[3,2,1,0]
// GFX11: v_cubetc_f32_e64_dpp v5, v1, v2, null quad_perm:[3,2,1,0] row_mask:0xf bank_mask:0xf ; encoding: [0x05,0x00,0x0e,0xd6,0xfa,0x04,0xf2,0x01,0x01,0x1b,0x00,0xff]

v_cubetc_f32_e64_dpp v5, v1, v2, s105 quad_perm:[3,2,1,0]
// GFX11: v_cubetc_f32_e64_dpp v5, v1, v2, s105 quad_perm:[3,2,1,0] row_mask:0xf bank_mask:0xf ; encoding: [0x05,0x00,0x0e,0xd6,0xfa,0x04,0xa6,0x01,0x01,0x1b,0x00,0xff]

v_cubetc_f32_e64_dpp v5, v1, v2, s3 quad_perm:[3,2,1,0]
// GFX11: v_cubetc_f32_e64_dpp v5, v1, v2, s3 quad_perm:[3,2,1,0] row_mask:0xf bank_mask:0xf ; encoding: [0x05,0x00,0x0e,0xd6,0xfa,0x04,0x0e,0x00,0x01,0x1b,0x00,0xff]

v_cubetc_f32_e64_dpp v5, v1, v2, src_scc quad_perm:[3,2,1,0]
// GFX11: v_cubetc_f32_e64_dpp v5, v1, v2, src_scc quad_perm:[3,2,1,0] row_mask:0xf bank_mask:0xf ; encoding: [0x05,0x00,0x0e,0xd6,0xfa,0x04,0xf6,0x03,0x01,0x1b,0x00,0xff]

v_cubetc_f32_e64_dpp v5, v1, v2, ttmp15 quad_perm:[3,2,1,0]
// GFX11: v_cubetc_f32_e64_dpp v5, v1, v2, ttmp15 quad_perm:[3,2,1,0] row_mask:0xf bank_mask:0xf ; encoding: [0x05,0x00,0x0e,0xd6,0xfa,0x04,0xee,0x01,0x01,0x1b,0x00,0xff]

v_cubetc_f32_e64_dpp v5, v1, v2, v255 quad_perm:[3,2,1,0]
// GFX11: v_cubetc_f32_e64_dpp v5, v1, v2, v255 quad_perm:[3,2,1,0] row_mask:0xf bank_mask:0xf ; encoding: [0x05,0x00,0x0e,0xd6,0xfa,0x04,0xfe,0x07,0x01,0x1b,0x00,0xff]

v_cubetc_f32_e64_dpp v5, v1, v2, vcc_hi quad_perm:[3,2,1,0]
// GFX11: v_cubetc_f32_e64_dpp v5, v1, v2, vcc_hi quad_perm:[3,2,1,0] row_mask:0xf bank_mask:0xf ; encoding: [0x05,0x00,0x0e,0xd6,0xfa,0x04,0xae,0x01,0x01,0x1b,0x00,0xff]

v_cubetc_f32_e64_dpp v5, v1, v2, vcc_lo quad_perm:[3,2,1,0]
// GFX11: v_cubetc_f32_e64_dpp v5, v1, v2, vcc_lo quad_perm:[3,2,1,0] row_mask:0xf bank_mask:0xf ; encoding: [0x05,0x00,0x0e,0xd6,0xfa,0x04,0xaa,0x01,0x01,0x1b,0x00,0xff]

v_cubetc_f32_e64_dpp v5, v1, v2, -|0.5| quad_perm:[3,2,1,0]
// GFX11: v_cubetc_f32_e64_dpp v5, v1, v2, -|0.5| quad_perm:[3,2,1,0] row_mask:0xf bank_mask:0xf ; encoding: [0x05,0x04,0x0e,0xd6,0xfa,0x04,0xc2,0x83,0x01,0x1b,0x00,0xff]

v_cubetc_f32_e64_dpp v5, v1, v2, v3 quad_perm:[3,2,1,0] bound_ctrl:0
// GFX11: v_cubetc_f32_e64_dpp v5, v1, v2, v3 quad_perm:[3,2,1,0] row_mask:0xf bank_mask:0xf ; encoding: [0x05,0x00,0x0e,0xd6,0xfa,0x04,0x0e,0x04,0x01,0x1b,0x00,0xff]

v_cubetc_f32_e64_dpp v5, v1, v2, v3 quad_perm:[3,2,1,0] bound_ctrl:1
// GFX11: v_cubetc_f32_e64_dpp v5, v1, v2, v3 quad_perm:[3,2,1,0] row_mask:0xf bank_mask:0xf bound_ctrl:1 ; encoding: [0x05,0x00,0x0e,0xd6,0xfa,0x04,0x0e,0x04,0x01,0x1b,0x08,0xff]

v_cubetc_f32_e64_dpp v5, v1, v2, v3 quad_perm:[0,1,2,3]
// GFX11: v_cubetc_f32_e64_dpp v5, v1, v2, v3 quad_perm:[0,1,2,3] row_mask:0xf bank_mask:0xf ; encoding: [0x05,0x00,0x0e,0xd6,0xfa,0x04,0x0e,0x04,0x01,0xe4,0x00,0xff]

v_cubetc_f32_e64_dpp v5, v1, v2, v3 row_half_mirror
// GFX11: v_cubetc_f32_e64_dpp v5, v1, v2, v3 row_half_mirror row_mask:0xf bank_mask:0xf ; encoding: [0x05,0x00,0x0e,0xd6,0xfa,0x04,0x0e,0x04,0x01,0x41,0x01,0xff]

v_cubetc_f32_e64_dpp v5, v1, v2, v3 row_mirror
// GFX11: v_cubetc_f32_e64_dpp v5, v1, v2, v3 row_mirror row_mask:0xf bank_mask:0xf ; encoding: [0x05,0x00,0x0e,0xd6,0xfa,0x04,0x0e,0x04,0x01,0x40,0x01,0xff]

v_cubetc_f32_e64_dpp v5, v1, v2, v3 row_ror:1
// GFX11: v_cubetc_f32_e64_dpp v5, v1, v2, v3 row_ror:1 row_mask:0xf bank_mask:0xf ; encoding: [0x05,0x00,0x0e,0xd6,0xfa,0x04,0x0e,0x04,0x01,0x21,0x01,0xff]

v_cubetc_f32_e64_dpp v5, v1, v2, v3 row_ror:15
// GFX11: v_cubetc_f32_e64_dpp v5, v1, v2, v3 row_ror:15 row_mask:0xf bank_mask:0xf ; encoding: [0x05,0x00,0x0e,0xd6,0xfa,0x04,0x0e,0x04,0x01,0x2f,0x01,0xff]

v_cubetc_f32_e64_dpp v5, v1, v2, v3 row_share:0
// GFX11: v_cubetc_f32_e64_dpp v5, v1, v2, v3 row_share:0 row_mask:0xf bank_mask:0xf ; encoding: [0x05,0x00,0x0e,0xd6,0xfa,0x04,0x0e,0x04,0x01,0x50,0x01,0xff]

v_cubetc_f32_e64_dpp v5, v1, v2, v3 row_share:15
// GFX11: v_cubetc_f32_e64_dpp v5, v1, v2, v3 row_share:15 row_mask:0xf bank_mask:0xf ; encoding: [0x05,0x00,0x0e,0xd6,0xfa,0x04,0x0e,0x04,0x01,0x5f,0x01,0xff]

v_cubetc_f32_e64_dpp v5, v1, v2, v3 row_shl:1
// GFX11: v_cubetc_f32_e64_dpp v5, v1, v2, v3 row_shl:1 row_mask:0xf bank_mask:0xf ; encoding: [0x05,0x00,0x0e,0xd6,0xfa,0x04,0x0e,0x04,0x01,0x01,0x01,0xff]

v_cubetc_f32_e64_dpp v5, v1, v2, v3 row_shl:15
// GFX11: v_cubetc_f32_e64_dpp v5, v1, v2, v3 row_shl:15 row_mask:0xf bank_mask:0xf ; encoding: [0x05,0x00,0x0e,0xd6,0xfa,0x04,0x0e,0x04,0x01,0x0f,0x01,0xff]

v_cubetc_f32_e64_dpp v5, v1, v2, v3 row_shr:1
// GFX11: v_cubetc_f32_e64_dpp v5, v1, v2, v3 row_shr:1 row_mask:0xf bank_mask:0xf ; encoding: [0x05,0x00,0x0e,0xd6,0xfa,0x04,0x0e,0x04,0x01,0x11,0x01,0xff]

v_cubetc_f32_e64_dpp v5, v1, v2, v3 row_shr:15
// GFX11: v_cubetc_f32_e64_dpp v5, v1, v2, v3 row_shr:15 row_mask:0xf bank_mask:0xf ; encoding: [0x05,0x00,0x0e,0xd6,0xfa,0x04,0x0e,0x04,0x01,0x1f,0x01,0xff]

v_cubetc_f32_e64_dpp v5, v1, v2, v3 row_xmask:0
// GFX11: v_cubetc_f32_e64_dpp v5, v1, v2, v3 row_xmask:0 row_mask:0xf bank_mask:0xf ; encoding: [0x05,0x00,0x0e,0xd6,0xfa,0x04,0x0e,0x04,0x01,0x60,0x01,0xff]

v_cubetc_f32_e64_dpp v5, v1, v2, v3 row_xmask:15
// GFX11: v_cubetc_f32_e64_dpp v5, v1, v2, v3 row_xmask:15 row_mask:0xf bank_mask:0xf ; encoding: [0x05,0x00,0x0e,0xd6,0xfa,0x04,0x0e,0x04,0x01,0x6f,0x01,0xff]

v_cubetc_f32_e64_dpp v5, v1, v2, v3 quad_perm:[3,2,1,0] fi:0
// GFX11: v_cubetc_f32_e64_dpp v5, v1, v2, v3 quad_perm:[3,2,1,0] row_mask:0xf bank_mask:0xf ; encoding: [0x05,0x00,0x0e,0xd6,0xfa,0x04,0x0e,0x04,0x01,0x1b,0x00,0xff]

v_cubetc_f32_e64_dpp v5, v1, v2, v3 quad_perm:[3,2,1,0] fi:1
// GFX11: v_cubetc_f32_e64_dpp v5, v1, v2, v3 quad_perm:[3,2,1,0] row_mask:0xf bank_mask:0xf fi:1 ; encoding: [0x05,0x00,0x0e,0xd6,0xfa,0x04,0x0e,0x04,0x01,0x1b,0x04,0xff]

v_cubetc_f32_e64_dpp v5, v1, v2, v3 div:2 quad_perm:[3,2,1,0]
// GFX11: v_cubetc_f32_e64_dpp v5, v1, v2, v3 div:2 quad_perm:[3,2,1,0] row_mask:0xf bank_mask:0xf ; encoding: [0x05,0x00,0x0e,0xd6,0xfa,0x04,0x0e,0x1c,0x01,0x1b,0x00,0xff]

v_cubetc_f32_e64_dpp v5, v1, v2, v3 mul:2 quad_perm:[3,2,1,0]
// GFX11: v_cubetc_f32_e64_dpp v5, v1, v2, v3 mul:2 quad_perm:[3,2,1,0] row_mask:0xf bank_mask:0xf ; encoding: [0x05,0x00,0x0e,0xd6,0xfa,0x04,0x0e,0x0c,0x01,0x1b,0x00,0xff]

v_cubetc_f32_e64_dpp v5, v1, v2, v3 mul:4 quad_perm:[3,2,1,0]
// GFX11: v_cubetc_f32_e64_dpp v5, v1, v2, v3 mul:4 quad_perm:[3,2,1,0] row_mask:0xf bank_mask:0xf ; encoding: [0x05,0x00,0x0e,0xd6,0xfa,0x04,0x0e,0x14,0x01,0x1b,0x00,0xff]

v_cubetc_f32_e64_dpp v5, v1, v2, v3 quad_perm:[3,2,1,0] row_mask:0x0 bank_mask:0x1
// GFX11: v_cubetc_f32_e64_dpp v5, v1, v2, v3 quad_perm:[3,2,1,0] row_mask:0x0 bank_mask:0x1 ; encoding: [0x05,0x00,0x0e,0xd6,0xfa,0x04,0x0e,0x04,0x01,0x1b,0x00,0x01]

v_cubetc_f32_e64_dpp v5, v1, v2, v3 quad_perm:[3,2,1,0] row_mask:0x3 bank_mask:0x0
// GFX11: v_cubetc_f32_e64_dpp v5, v1, v2, v3 quad_perm:[3,2,1,0] row_mask:0x3 bank_mask:0x0 ; encoding: [0x05,0x00,0x0e,0xd6,0xfa,0x04,0x0e,0x04,0x01,0x1b,0x00,0x30]
	;; [unrolled: 3-line block ×3, first 2 shown]

v_cubetc_f32_e64_dpp v5, v1, v2, v3 clamp quad_perm:[3,2,1,0]
// GFX11: v_cubetc_f32_e64_dpp v5, v1, v2, v3 clamp quad_perm:[3,2,1,0] row_mask:0xf bank_mask:0xf ; encoding: [0x05,0x80,0x0e,0xd6,0xfa,0x04,0x0e,0x04,0x01,0x1b,0x00,0xff]

v_cvt_pk_i16_f32_e64_dpp v5, v1, v2 quad_perm:[3,2,1,0]
// GFX11: v_cvt_pk_i16_f32_e64_dpp v5, v1, v2 quad_perm:[3,2,1,0] row_mask:0xf bank_mask:0xf ; encoding: [0x05,0x00,0x06,0xd7,0xfa,0x04,0x02,0x00,0x01,0x1b,0x00,0xff]

v_cvt_pk_i16_f32_e64_dpp v255, v255, v255 quad_perm:[3,2,1,0]
// GFX11: v_cvt_pk_i16_f32_e64_dpp v255, v255, v255 quad_perm:[3,2,1,0] row_mask:0xf bank_mask:0xf ; encoding: [0xff,0x00,0x06,0xd7,0xfa,0xfe,0x03,0x00,0xff,0x1b,0x00,0xff]

v_cvt_pk_i16_f32_e64_dpp v5, -v7, v2 quad_perm:[3,2,1,0]
// GFX11: v_cvt_pk_i16_f32_e64_dpp v5, -v7, v2 quad_perm:[3,2,1,0] row_mask:0xf bank_mask:0xf ; encoding: [0x05,0x00,0x06,0xd7,0xfa,0x04,0x02,0x20,0x07,0x1b,0x00,0xff]

v_cvt_pk_i16_f32_e64_dpp v5, |v7|, v2 quad_perm:[3,2,1,0]
// GFX11: v_cvt_pk_i16_f32_e64_dpp v5, |v7|, v2 quad_perm:[3,2,1,0] row_mask:0xf bank_mask:0xf ; encoding: [0x05,0x01,0x06,0xd7,0xfa,0x04,0x02,0x00,0x07,0x1b,0x00,0xff]

v_cvt_pk_i16_f32_e64_dpp v5, -|v7|, v2 quad_perm:[3,2,1,0]
// GFX11: v_cvt_pk_i16_f32_e64_dpp v5, -|v7|, v2 quad_perm:[3,2,1,0] row_mask:0xf bank_mask:0xf ; encoding: [0x05,0x01,0x06,0xd7,0xfa,0x04,0x02,0x20,0x07,0x1b,0x00,0xff]

v_cvt_pk_i16_f32_e64_dpp v5, v1, -v7 quad_perm:[3,2,1,0]
// GFX11: v_cvt_pk_i16_f32_e64_dpp v5, v1, -v7 quad_perm:[3,2,1,0] row_mask:0xf bank_mask:0xf ; encoding: [0x05,0x00,0x06,0xd7,0xfa,0x0e,0x02,0x40,0x01,0x1b,0x00,0xff]

v_cvt_pk_i16_f32_e64_dpp v5, v1, |v7| quad_perm:[3,2,1,0]
// GFX11: v_cvt_pk_i16_f32_e64_dpp v5, v1, |v7| quad_perm:[3,2,1,0] row_mask:0xf bank_mask:0xf ; encoding: [0x05,0x02,0x06,0xd7,0xfa,0x0e,0x02,0x00,0x01,0x1b,0x00,0xff]

v_cvt_pk_i16_f32_e64_dpp v5, v1, -|v7| quad_perm:[3,2,1,0]
// GFX11: v_cvt_pk_i16_f32_e64_dpp v5, v1, -|v7| quad_perm:[3,2,1,0] row_mask:0xf bank_mask:0xf ; encoding: [0x05,0x02,0x06,0xd7,0xfa,0x0e,0x02,0x40,0x01,0x1b,0x00,0xff]

v_cvt_pk_i16_f32_e64_dpp v5, v1, v2 quad_perm:[3,2,1,0] bound_ctrl:0
// GFX11: v_cvt_pk_i16_f32_e64_dpp v5, v1, v2 quad_perm:[3,2,1,0] row_mask:0xf bank_mask:0xf ; encoding: [0x05,0x00,0x06,0xd7,0xfa,0x04,0x02,0x00,0x01,0x1b,0x00,0xff]

v_cvt_pk_i16_f32_e64_dpp v5, v1, v2 quad_perm:[3,2,1,0] bound_ctrl:1
// GFX11: v_cvt_pk_i16_f32_e64_dpp v5, v1, v2 quad_perm:[3,2,1,0] row_mask:0xf bank_mask:0xf bound_ctrl:1 ; encoding: [0x05,0x00,0x06,0xd7,0xfa,0x04,0x02,0x00,0x01,0x1b,0x08,0xff]

v_cvt_pk_i16_f32_e64_dpp v5, v1, v2 quad_perm:[0,1,2,3]
// GFX11: v_cvt_pk_i16_f32_e64_dpp v5, v1, v2 quad_perm:[0,1,2,3] row_mask:0xf bank_mask:0xf ; encoding: [0x05,0x00,0x06,0xd7,0xfa,0x04,0x02,0x00,0x01,0xe4,0x00,0xff]

v_cvt_pk_i16_f32_e64_dpp v5, v1, v2 row_half_mirror
// GFX11: v_cvt_pk_i16_f32_e64_dpp v5, v1, v2 row_half_mirror row_mask:0xf bank_mask:0xf ; encoding: [0x05,0x00,0x06,0xd7,0xfa,0x04,0x02,0x00,0x01,0x41,0x01,0xff]

v_cvt_pk_i16_f32_e64_dpp v5, v1, v2 row_mirror
// GFX11: v_cvt_pk_i16_f32_e64_dpp v5, v1, v2 row_mirror row_mask:0xf bank_mask:0xf ; encoding: [0x05,0x00,0x06,0xd7,0xfa,0x04,0x02,0x00,0x01,0x40,0x01,0xff]

v_cvt_pk_i16_f32_e64_dpp v5, v1, v2 row_ror:1
// GFX11: v_cvt_pk_i16_f32_e64_dpp v5, v1, v2 row_ror:1 row_mask:0xf bank_mask:0xf ; encoding: [0x05,0x00,0x06,0xd7,0xfa,0x04,0x02,0x00,0x01,0x21,0x01,0xff]

v_cvt_pk_i16_f32_e64_dpp v5, v1, v2 row_ror:15
// GFX11: v_cvt_pk_i16_f32_e64_dpp v5, v1, v2 row_ror:15 row_mask:0xf bank_mask:0xf ; encoding: [0x05,0x00,0x06,0xd7,0xfa,0x04,0x02,0x00,0x01,0x2f,0x01,0xff]

v_cvt_pk_i16_f32_e64_dpp v5, v1, v2 row_share:0
// GFX11: v_cvt_pk_i16_f32_e64_dpp v5, v1, v2 row_share:0 row_mask:0xf bank_mask:0xf ; encoding: [0x05,0x00,0x06,0xd7,0xfa,0x04,0x02,0x00,0x01,0x50,0x01,0xff]

v_cvt_pk_i16_f32_e64_dpp v5, v1, v2 row_share:15
// GFX11: v_cvt_pk_i16_f32_e64_dpp v5, v1, v2 row_share:15 row_mask:0xf bank_mask:0xf ; encoding: [0x05,0x00,0x06,0xd7,0xfa,0x04,0x02,0x00,0x01,0x5f,0x01,0xff]

v_cvt_pk_i16_f32_e64_dpp v5, v1, v2 row_shl:1
// GFX11: v_cvt_pk_i16_f32_e64_dpp v5, v1, v2 row_shl:1 row_mask:0xf bank_mask:0xf ; encoding: [0x05,0x00,0x06,0xd7,0xfa,0x04,0x02,0x00,0x01,0x01,0x01,0xff]

v_cvt_pk_i16_f32_e64_dpp v5, v1, v2 row_shl:15
// GFX11: v_cvt_pk_i16_f32_e64_dpp v5, v1, v2 row_shl:15 row_mask:0xf bank_mask:0xf ; encoding: [0x05,0x00,0x06,0xd7,0xfa,0x04,0x02,0x00,0x01,0x0f,0x01,0xff]

v_cvt_pk_i16_f32_e64_dpp v5, v1, v2 row_shr:1
// GFX11: v_cvt_pk_i16_f32_e64_dpp v5, v1, v2 row_shr:1 row_mask:0xf bank_mask:0xf ; encoding: [0x05,0x00,0x06,0xd7,0xfa,0x04,0x02,0x00,0x01,0x11,0x01,0xff]

v_cvt_pk_i16_f32_e64_dpp v5, v1, v2 row_shr:15
// GFX11: v_cvt_pk_i16_f32_e64_dpp v5, v1, v2 row_shr:15 row_mask:0xf bank_mask:0xf ; encoding: [0x05,0x00,0x06,0xd7,0xfa,0x04,0x02,0x00,0x01,0x1f,0x01,0xff]

v_cvt_pk_i16_f32_e64_dpp v5, v1, v2 row_xmask:0
// GFX11: v_cvt_pk_i16_f32_e64_dpp v5, v1, v2 row_xmask:0 row_mask:0xf bank_mask:0xf ; encoding: [0x05,0x00,0x06,0xd7,0xfa,0x04,0x02,0x00,0x01,0x60,0x01,0xff]

v_cvt_pk_i16_f32_e64_dpp v5, v1, v2 row_xmask:15
// GFX11: v_cvt_pk_i16_f32_e64_dpp v5, v1, v2 row_xmask:15 row_mask:0xf bank_mask:0xf ; encoding: [0x05,0x00,0x06,0xd7,0xfa,0x04,0x02,0x00,0x01,0x6f,0x01,0xff]

v_cvt_pk_i16_f32_e64_dpp v5, v1, v2 quad_perm:[3,2,1,0] fi:0
// GFX11: v_cvt_pk_i16_f32_e64_dpp v5, v1, v2 quad_perm:[3,2,1,0] row_mask:0xf bank_mask:0xf ; encoding: [0x05,0x00,0x06,0xd7,0xfa,0x04,0x02,0x00,0x01,0x1b,0x00,0xff]

v_cvt_pk_i16_f32_e64_dpp v5, v1, v2 quad_perm:[3,2,1,0] fi:1
// GFX11: v_cvt_pk_i16_f32_e64_dpp v5, v1, v2 quad_perm:[3,2,1,0] row_mask:0xf bank_mask:0xf fi:1 ; encoding: [0x05,0x00,0x06,0xd7,0xfa,0x04,0x02,0x00,0x01,0x1b,0x04,0xff]

v_cvt_pk_i16_f32_e64_dpp v5, v1, v2 quad_perm:[3,2,1,0] row_mask:0x0 bank_mask:0x1
// GFX11: v_cvt_pk_i16_f32_e64_dpp v5, v1, v2 quad_perm:[3,2,1,0] row_mask:0x0 bank_mask:0x1 ; encoding: [0x05,0x00,0x06,0xd7,0xfa,0x04,0x02,0x00,0x01,0x1b,0x00,0x01]

v_cvt_pk_i16_f32_e64_dpp v5, v1, v2 quad_perm:[3,2,1,0] row_mask:0x3 bank_mask:0x0
// GFX11: v_cvt_pk_i16_f32_e64_dpp v5, v1, v2 quad_perm:[3,2,1,0] row_mask:0x3 bank_mask:0x0 ; encoding: [0x05,0x00,0x06,0xd7,0xfa,0x04,0x02,0x00,0x01,0x1b,0x00,0x30]
	;; [unrolled: 3-line block ×3, first 2 shown]

v_cvt_pk_i16_i32_e64_dpp v5, v1, v2 quad_perm:[3,2,1,0]
// GFX11: v_cvt_pk_i16_i32_e64_dpp v5, v1, v2 quad_perm:[3,2,1,0] row_mask:0xf bank_mask:0xf ; encoding: [0x05,0x00,0x24,0xd7,0xfa,0x04,0x02,0x00,0x01,0x1b,0x00,0xff]

v_cvt_pk_i16_i32_e64_dpp v255, v255, v255 quad_perm:[3,2,1,0]
// GFX11: v_cvt_pk_i16_i32_e64_dpp v255, v255, v255 quad_perm:[3,2,1,0] row_mask:0xf bank_mask:0xf ; encoding: [0xff,0x00,0x24,0xd7,0xfa,0xfe,0x03,0x00,0xff,0x1b,0x00,0xff]

v_cvt_pk_i16_i32_e64_dpp v5, v1, v2 quad_perm:[3,2,1,0] bound_ctrl:0
// GFX11: v_cvt_pk_i16_i32_e64_dpp v5, v1, v2 quad_perm:[3,2,1,0] row_mask:0xf bank_mask:0xf ; encoding: [0x05,0x00,0x24,0xd7,0xfa,0x04,0x02,0x00,0x01,0x1b,0x00,0xff]

v_cvt_pk_i16_i32_e64_dpp v5, v1, v2 quad_perm:[3,2,1,0] bound_ctrl:1
// GFX11: v_cvt_pk_i16_i32_e64_dpp v5, v1, v2 quad_perm:[3,2,1,0] row_mask:0xf bank_mask:0xf bound_ctrl:1 ; encoding: [0x05,0x00,0x24,0xd7,0xfa,0x04,0x02,0x00,0x01,0x1b,0x08,0xff]

v_cvt_pk_i16_i32_e64_dpp v5, v1, v2 quad_perm:[0,1,2,3]
// GFX11: v_cvt_pk_i16_i32_e64_dpp v5, v1, v2 quad_perm:[0,1,2,3] row_mask:0xf bank_mask:0xf ; encoding: [0x05,0x00,0x24,0xd7,0xfa,0x04,0x02,0x00,0x01,0xe4,0x00,0xff]

v_cvt_pk_i16_i32_e64_dpp v5, v1, v2 row_half_mirror
// GFX11: v_cvt_pk_i16_i32_e64_dpp v5, v1, v2 row_half_mirror row_mask:0xf bank_mask:0xf ; encoding: [0x05,0x00,0x24,0xd7,0xfa,0x04,0x02,0x00,0x01,0x41,0x01,0xff]

v_cvt_pk_i16_i32_e64_dpp v5, v1, v2 row_mirror
// GFX11: v_cvt_pk_i16_i32_e64_dpp v5, v1, v2 row_mirror row_mask:0xf bank_mask:0xf ; encoding: [0x05,0x00,0x24,0xd7,0xfa,0x04,0x02,0x00,0x01,0x40,0x01,0xff]

v_cvt_pk_i16_i32_e64_dpp v5, v1, v2 row_ror:1
// GFX11: v_cvt_pk_i16_i32_e64_dpp v5, v1, v2 row_ror:1 row_mask:0xf bank_mask:0xf ; encoding: [0x05,0x00,0x24,0xd7,0xfa,0x04,0x02,0x00,0x01,0x21,0x01,0xff]

v_cvt_pk_i16_i32_e64_dpp v5, v1, v2 row_ror:15
// GFX11: v_cvt_pk_i16_i32_e64_dpp v5, v1, v2 row_ror:15 row_mask:0xf bank_mask:0xf ; encoding: [0x05,0x00,0x24,0xd7,0xfa,0x04,0x02,0x00,0x01,0x2f,0x01,0xff]

v_cvt_pk_i16_i32_e64_dpp v5, v1, v2 row_share:0
// GFX11: v_cvt_pk_i16_i32_e64_dpp v5, v1, v2 row_share:0 row_mask:0xf bank_mask:0xf ; encoding: [0x05,0x00,0x24,0xd7,0xfa,0x04,0x02,0x00,0x01,0x50,0x01,0xff]

v_cvt_pk_i16_i32_e64_dpp v5, v1, v2 row_share:15
// GFX11: v_cvt_pk_i16_i32_e64_dpp v5, v1, v2 row_share:15 row_mask:0xf bank_mask:0xf ; encoding: [0x05,0x00,0x24,0xd7,0xfa,0x04,0x02,0x00,0x01,0x5f,0x01,0xff]

v_cvt_pk_i16_i32_e64_dpp v5, v1, v2 row_shl:1
// GFX11: v_cvt_pk_i16_i32_e64_dpp v5, v1, v2 row_shl:1 row_mask:0xf bank_mask:0xf ; encoding: [0x05,0x00,0x24,0xd7,0xfa,0x04,0x02,0x00,0x01,0x01,0x01,0xff]

v_cvt_pk_i16_i32_e64_dpp v5, v1, v2 row_shl:15
// GFX11: v_cvt_pk_i16_i32_e64_dpp v5, v1, v2 row_shl:15 row_mask:0xf bank_mask:0xf ; encoding: [0x05,0x00,0x24,0xd7,0xfa,0x04,0x02,0x00,0x01,0x0f,0x01,0xff]

v_cvt_pk_i16_i32_e64_dpp v5, v1, v2 row_shr:1
// GFX11: v_cvt_pk_i16_i32_e64_dpp v5, v1, v2 row_shr:1 row_mask:0xf bank_mask:0xf ; encoding: [0x05,0x00,0x24,0xd7,0xfa,0x04,0x02,0x00,0x01,0x11,0x01,0xff]

v_cvt_pk_i16_i32_e64_dpp v5, v1, v2 row_shr:15
// GFX11: v_cvt_pk_i16_i32_e64_dpp v5, v1, v2 row_shr:15 row_mask:0xf bank_mask:0xf ; encoding: [0x05,0x00,0x24,0xd7,0xfa,0x04,0x02,0x00,0x01,0x1f,0x01,0xff]

v_cvt_pk_i16_i32_e64_dpp v5, v1, v2 row_xmask:0
// GFX11: v_cvt_pk_i16_i32_e64_dpp v5, v1, v2 row_xmask:0 row_mask:0xf bank_mask:0xf ; encoding: [0x05,0x00,0x24,0xd7,0xfa,0x04,0x02,0x00,0x01,0x60,0x01,0xff]

v_cvt_pk_i16_i32_e64_dpp v5, v1, v2 row_xmask:15
// GFX11: v_cvt_pk_i16_i32_e64_dpp v5, v1, v2 row_xmask:15 row_mask:0xf bank_mask:0xf ; encoding: [0x05,0x00,0x24,0xd7,0xfa,0x04,0x02,0x00,0x01,0x6f,0x01,0xff]

v_cvt_pk_i16_i32_e64_dpp v5, v1, v2 quad_perm:[3,2,1,0] fi:0
// GFX11: v_cvt_pk_i16_i32_e64_dpp v5, v1, v2 quad_perm:[3,2,1,0] row_mask:0xf bank_mask:0xf ; encoding: [0x05,0x00,0x24,0xd7,0xfa,0x04,0x02,0x00,0x01,0x1b,0x00,0xff]

v_cvt_pk_i16_i32_e64_dpp v5, v1, v2 quad_perm:[3,2,1,0] fi:1
// GFX11: v_cvt_pk_i16_i32_e64_dpp v5, v1, v2 quad_perm:[3,2,1,0] row_mask:0xf bank_mask:0xf fi:1 ; encoding: [0x05,0x00,0x24,0xd7,0xfa,0x04,0x02,0x00,0x01,0x1b,0x04,0xff]

v_cvt_pk_i16_i32_e64_dpp v5, v1, v2 quad_perm:[3,2,1,0] row_mask:0x0 bank_mask:0x1
// GFX11: v_cvt_pk_i16_i32_e64_dpp v5, v1, v2 quad_perm:[3,2,1,0] row_mask:0x0 bank_mask:0x1 ; encoding: [0x05,0x00,0x24,0xd7,0xfa,0x04,0x02,0x00,0x01,0x1b,0x00,0x01]

v_cvt_pk_i16_i32_e64_dpp v5, v1, v2 quad_perm:[3,2,1,0] row_mask:0x3 bank_mask:0x0
// GFX11: v_cvt_pk_i16_i32_e64_dpp v5, v1, v2 quad_perm:[3,2,1,0] row_mask:0x3 bank_mask:0x0 ; encoding: [0x05,0x00,0x24,0xd7,0xfa,0x04,0x02,0x00,0x01,0x1b,0x00,0x30]
	;; [unrolled: 3-line block ×3, first 2 shown]

v_cvt_pk_norm_i16_f16_e64_dpp v5, v1.l, v2.l quad_perm:[3,2,1,0]
// GFX11: v_cvt_pk_norm_i16_f16_e64_dpp v5, v1.l, v2.l quad_perm:[3,2,1,0] row_mask:0xf bank_mask:0xf ; encoding: [0x05,0x00,0x12,0xd7,0xfa,0x04,0x02,0x00,0x01,0x1b,0x00,0xff]

v_cvt_pk_norm_i16_f16_e64_dpp v255, v255.l, v255.l quad_perm:[3,2,1,0]
// GFX11: v_cvt_pk_norm_i16_f16_e64_dpp v255, v255.l, v255.l quad_perm:[3,2,1,0] row_mask:0xf bank_mask:0xf ; encoding: [0xff,0x00,0x12,0xd7,0xfa,0xfe,0x03,0x00,0xff,0x1b,0x00,0xff]

v_cvt_pk_norm_i16_f16_e64_dpp v5, -v7.l, v2.l quad_perm:[3,2,1,0]
// GFX11: v_cvt_pk_norm_i16_f16_e64_dpp v5, -v7.l, v2.l quad_perm:[3,2,1,0] row_mask:0xf bank_mask:0xf ; encoding: [0x05,0x00,0x12,0xd7,0xfa,0x04,0x02,0x20,0x07,0x1b,0x00,0xff]

v_cvt_pk_norm_i16_f16_e64_dpp v5, |v7.l|, v2.l quad_perm:[3,2,1,0]
// GFX11: v_cvt_pk_norm_i16_f16_e64_dpp v5, |v7.l|, v2.l quad_perm:[3,2,1,0] row_mask:0xf bank_mask:0xf ; encoding: [0x05,0x01,0x12,0xd7,0xfa,0x04,0x02,0x00,0x07,0x1b,0x00,0xff]

v_cvt_pk_norm_i16_f16_e64_dpp v5, -|v7.l|, v2.l quad_perm:[3,2,1,0]
// GFX11: v_cvt_pk_norm_i16_f16_e64_dpp v5, -|v7.l|, v2.l quad_perm:[3,2,1,0] row_mask:0xf bank_mask:0xf ; encoding: [0x05,0x01,0x12,0xd7,0xfa,0x04,0x02,0x20,0x07,0x1b,0x00,0xff]

v_cvt_pk_norm_i16_f16_e64_dpp v5, v1.l, -v7.l quad_perm:[3,2,1,0]
// GFX11: v_cvt_pk_norm_i16_f16_e64_dpp v5, v1.l, -v7.l quad_perm:[3,2,1,0] row_mask:0xf bank_mask:0xf ; encoding: [0x05,0x00,0x12,0xd7,0xfa,0x0e,0x02,0x40,0x01,0x1b,0x00,0xff]

v_cvt_pk_norm_i16_f16_e64_dpp v5, v1.l, |v7.l| quad_perm:[3,2,1,0]
// GFX11: v_cvt_pk_norm_i16_f16_e64_dpp v5, v1.l, |v7.l| quad_perm:[3,2,1,0] row_mask:0xf bank_mask:0xf ; encoding: [0x05,0x02,0x12,0xd7,0xfa,0x0e,0x02,0x00,0x01,0x1b,0x00,0xff]

v_cvt_pk_norm_i16_f16_e64_dpp v5, v1.l, -|v7.l| quad_perm:[3,2,1,0]
// GFX11: v_cvt_pk_norm_i16_f16_e64_dpp v5, v1.l, -|v7.l| quad_perm:[3,2,1,0] row_mask:0xf bank_mask:0xf ; encoding: [0x05,0x02,0x12,0xd7,0xfa,0x0e,0x02,0x40,0x01,0x1b,0x00,0xff]

v_cvt_pk_norm_i16_f16_e64_dpp v5, v1.h, v2.l op_sel:[1,0,0] quad_perm:[3,2,1,0]
// GFX11: v_cvt_pk_norm_i16_f16_e64_dpp v5, v1.h, v2.l op_sel:[1,0,0] quad_perm:[3,2,1,0] row_mask:0xf bank_mask:0xf ; encoding: [0x05,0x08,0x12,0xd7,0xfa,0x04,0x02,0x00,0x01,0x1b,0x00,0xff]

v_cvt_pk_norm_i16_f16_e64_dpp v5, v1.l, v2.h op_sel:[0,1,0] quad_perm:[3,2,1,0]
// GFX11: v_cvt_pk_norm_i16_f16_e64_dpp v5, v1.l, v2.h op_sel:[0,1,0] quad_perm:[3,2,1,0] row_mask:0xf bank_mask:0xf ; encoding: [0x05,0x10,0x12,0xd7,0xfa,0x04,0x02,0x00,0x01,0x1b,0x00,0xff]

v_cvt_pk_norm_i16_f16_e64_dpp v5, v1.l, v2.l quad_perm:[3,2,1,0] bound_ctrl:0
// GFX11: v_cvt_pk_norm_i16_f16_e64_dpp v5, v1.l, v2.l quad_perm:[3,2,1,0] row_mask:0xf bank_mask:0xf ; encoding: [0x05,0x00,0x12,0xd7,0xfa,0x04,0x02,0x00,0x01,0x1b,0x00,0xff]

v_cvt_pk_norm_i16_f16_e64_dpp v5, v1.l, v2.l quad_perm:[3,2,1,0] bound_ctrl:1
// GFX11: v_cvt_pk_norm_i16_f16_e64_dpp v5, v1.l, v2.l quad_perm:[3,2,1,0] row_mask:0xf bank_mask:0xf bound_ctrl:1 ; encoding: [0x05,0x00,0x12,0xd7,0xfa,0x04,0x02,0x00,0x01,0x1b,0x08,0xff]

v_cvt_pk_norm_i16_f16_e64_dpp v5, v1.l, v2.l quad_perm:[0,1,2,3]
// GFX11: v_cvt_pk_norm_i16_f16_e64_dpp v5, v1.l, v2.l quad_perm:[0,1,2,3] row_mask:0xf bank_mask:0xf ; encoding: [0x05,0x00,0x12,0xd7,0xfa,0x04,0x02,0x00,0x01,0xe4,0x00,0xff]

v_cvt_pk_norm_i16_f16_e64_dpp v5, v1.l, v2.l row_half_mirror
// GFX11: v_cvt_pk_norm_i16_f16_e64_dpp v5, v1.l, v2.l row_half_mirror row_mask:0xf bank_mask:0xf ; encoding: [0x05,0x00,0x12,0xd7,0xfa,0x04,0x02,0x00,0x01,0x41,0x01,0xff]

v_cvt_pk_norm_i16_f16_e64_dpp v5, v1.l, v2.l row_mirror
// GFX11: v_cvt_pk_norm_i16_f16_e64_dpp v5, v1.l, v2.l row_mirror row_mask:0xf bank_mask:0xf ; encoding: [0x05,0x00,0x12,0xd7,0xfa,0x04,0x02,0x00,0x01,0x40,0x01,0xff]

v_cvt_pk_norm_i16_f16_e64_dpp v5, v1.l, v2.l row_ror:1
// GFX11: v_cvt_pk_norm_i16_f16_e64_dpp v5, v1.l, v2.l row_ror:1 row_mask:0xf bank_mask:0xf ; encoding: [0x05,0x00,0x12,0xd7,0xfa,0x04,0x02,0x00,0x01,0x21,0x01,0xff]

v_cvt_pk_norm_i16_f16_e64_dpp v5, v1.l, v2.l row_ror:15
// GFX11: v_cvt_pk_norm_i16_f16_e64_dpp v5, v1.l, v2.l row_ror:15 row_mask:0xf bank_mask:0xf ; encoding: [0x05,0x00,0x12,0xd7,0xfa,0x04,0x02,0x00,0x01,0x2f,0x01,0xff]

v_cvt_pk_norm_i16_f16_e64_dpp v5, v1.l, v2.l row_share:0
// GFX11: v_cvt_pk_norm_i16_f16_e64_dpp v5, v1.l, v2.l row_share:0 row_mask:0xf bank_mask:0xf ; encoding: [0x05,0x00,0x12,0xd7,0xfa,0x04,0x02,0x00,0x01,0x50,0x01,0xff]

v_cvt_pk_norm_i16_f16_e64_dpp v5, v1.l, v2.l row_share:15
// GFX11: v_cvt_pk_norm_i16_f16_e64_dpp v5, v1.l, v2.l row_share:15 row_mask:0xf bank_mask:0xf ; encoding: [0x05,0x00,0x12,0xd7,0xfa,0x04,0x02,0x00,0x01,0x5f,0x01,0xff]

v_cvt_pk_norm_i16_f16_e64_dpp v5, v1.l, v2.l row_shl:1
// GFX11: v_cvt_pk_norm_i16_f16_e64_dpp v5, v1.l, v2.l row_shl:1 row_mask:0xf bank_mask:0xf ; encoding: [0x05,0x00,0x12,0xd7,0xfa,0x04,0x02,0x00,0x01,0x01,0x01,0xff]

v_cvt_pk_norm_i16_f16_e64_dpp v5, v1.l, v2.l row_shl:15
// GFX11: v_cvt_pk_norm_i16_f16_e64_dpp v5, v1.l, v2.l row_shl:15 row_mask:0xf bank_mask:0xf ; encoding: [0x05,0x00,0x12,0xd7,0xfa,0x04,0x02,0x00,0x01,0x0f,0x01,0xff]

v_cvt_pk_norm_i16_f16_e64_dpp v5, v1.l, v2.l row_shr:1
// GFX11: v_cvt_pk_norm_i16_f16_e64_dpp v5, v1.l, v2.l row_shr:1 row_mask:0xf bank_mask:0xf ; encoding: [0x05,0x00,0x12,0xd7,0xfa,0x04,0x02,0x00,0x01,0x11,0x01,0xff]

v_cvt_pk_norm_i16_f16_e64_dpp v5, v1.l, v2.l row_shr:15
// GFX11: v_cvt_pk_norm_i16_f16_e64_dpp v5, v1.l, v2.l row_shr:15 row_mask:0xf bank_mask:0xf ; encoding: [0x05,0x00,0x12,0xd7,0xfa,0x04,0x02,0x00,0x01,0x1f,0x01,0xff]

v_cvt_pk_norm_i16_f16_e64_dpp v5, v1.l, v2.l row_xmask:0
// GFX11: v_cvt_pk_norm_i16_f16_e64_dpp v5, v1.l, v2.l row_xmask:0 row_mask:0xf bank_mask:0xf ; encoding: [0x05,0x00,0x12,0xd7,0xfa,0x04,0x02,0x00,0x01,0x60,0x01,0xff]

v_cvt_pk_norm_i16_f16_e64_dpp v5, v1.l, v2.l row_xmask:15
// GFX11: v_cvt_pk_norm_i16_f16_e64_dpp v5, v1.l, v2.l row_xmask:15 row_mask:0xf bank_mask:0xf ; encoding: [0x05,0x00,0x12,0xd7,0xfa,0x04,0x02,0x00,0x01,0x6f,0x01,0xff]

v_cvt_pk_norm_i16_f16_e64_dpp v5, v1.l, v2.l quad_perm:[3,2,1,0] fi:0
// GFX11: v_cvt_pk_norm_i16_f16_e64_dpp v5, v1.l, v2.l quad_perm:[3,2,1,0] row_mask:0xf bank_mask:0xf ; encoding: [0x05,0x00,0x12,0xd7,0xfa,0x04,0x02,0x00,0x01,0x1b,0x00,0xff]

v_cvt_pk_norm_i16_f16_e64_dpp v5, v1.l, v2.l quad_perm:[3,2,1,0] fi:1
// GFX11: v_cvt_pk_norm_i16_f16_e64_dpp v5, v1.l, v2.l quad_perm:[3,2,1,0] row_mask:0xf bank_mask:0xf fi:1 ; encoding: [0x05,0x00,0x12,0xd7,0xfa,0x04,0x02,0x00,0x01,0x1b,0x04,0xff]

v_cvt_pk_norm_i16_f16_e64_dpp v5, v1.l, v2.l quad_perm:[3,2,1,0] row_mask:0x0 bank_mask:0x1
// GFX11: v_cvt_pk_norm_i16_f16_e64_dpp v5, v1.l, v2.l quad_perm:[3,2,1,0] row_mask:0x0 bank_mask:0x1 ; encoding: [0x05,0x00,0x12,0xd7,0xfa,0x04,0x02,0x00,0x01,0x1b,0x00,0x01]

v_cvt_pk_norm_i16_f16_e64_dpp v5, v1.l, v2.l quad_perm:[3,2,1,0] row_mask:0x3 bank_mask:0x0
// GFX11: v_cvt_pk_norm_i16_f16_e64_dpp v5, v1.l, v2.l quad_perm:[3,2,1,0] row_mask:0x3 bank_mask:0x0 ; encoding: [0x05,0x00,0x12,0xd7,0xfa,0x04,0x02,0x00,0x01,0x1b,0x00,0x30]
	;; [unrolled: 3-line block ×3, first 2 shown]

v_cvt_pk_norm_i16_f16_e64_dpp v5, v1.l, v2.l clamp quad_perm:[3,2,1,0]
// GFX11: v_cvt_pk_norm_i16_f16_e64_dpp v5, v1.l, v2.l clamp quad_perm:[3,2,1,0] row_mask:0xf bank_mask:0xf ; encoding: [0x05,0x80,0x12,0xd7,0xfa,0x04,0x02,0x00,0x01,0x1b,0x00,0xff]

v_cvt_pk_norm_i16_f32_e64_dpp v5, v1, v2 quad_perm:[3,2,1,0]
// GFX11: v_cvt_pk_norm_i16_f32_e64_dpp v5, v1, v2 quad_perm:[3,2,1,0] row_mask:0xf bank_mask:0xf ; encoding: [0x05,0x00,0x21,0xd7,0xfa,0x04,0x02,0x00,0x01,0x1b,0x00,0xff]

v_cvt_pk_norm_i16_f32_e64_dpp v255, v255, v255 quad_perm:[3,2,1,0]
// GFX11: v_cvt_pk_norm_i16_f32_e64_dpp v255, v255, v255 quad_perm:[3,2,1,0] row_mask:0xf bank_mask:0xf ; encoding: [0xff,0x00,0x21,0xd7,0xfa,0xfe,0x03,0x00,0xff,0x1b,0x00,0xff]

v_cvt_pk_norm_i16_f32_e64_dpp v5, -v7, v2 quad_perm:[3,2,1,0]
// GFX11: v_cvt_pk_norm_i16_f32_e64_dpp v5, -v7, v2 quad_perm:[3,2,1,0] row_mask:0xf bank_mask:0xf ; encoding: [0x05,0x00,0x21,0xd7,0xfa,0x04,0x02,0x20,0x07,0x1b,0x00,0xff]

v_cvt_pk_norm_i16_f32_e64_dpp v5, |v7|, v2 quad_perm:[3,2,1,0]
// GFX11: v_cvt_pk_norm_i16_f32_e64_dpp v5, |v7|, v2 quad_perm:[3,2,1,0] row_mask:0xf bank_mask:0xf ; encoding: [0x05,0x01,0x21,0xd7,0xfa,0x04,0x02,0x00,0x07,0x1b,0x00,0xff]

v_cvt_pk_norm_i16_f32_e64_dpp v5, -|v7|, v2 quad_perm:[3,2,1,0]
// GFX11: v_cvt_pk_norm_i16_f32_e64_dpp v5, -|v7|, v2 quad_perm:[3,2,1,0] row_mask:0xf bank_mask:0xf ; encoding: [0x05,0x01,0x21,0xd7,0xfa,0x04,0x02,0x20,0x07,0x1b,0x00,0xff]

v_cvt_pk_norm_i16_f32_e64_dpp v5, v1, -v7 quad_perm:[3,2,1,0]
// GFX11: v_cvt_pk_norm_i16_f32_e64_dpp v5, v1, -v7 quad_perm:[3,2,1,0] row_mask:0xf bank_mask:0xf ; encoding: [0x05,0x00,0x21,0xd7,0xfa,0x0e,0x02,0x40,0x01,0x1b,0x00,0xff]

v_cvt_pk_norm_i16_f32_e64_dpp v5, v1, |v7| quad_perm:[3,2,1,0]
// GFX11: v_cvt_pk_norm_i16_f32_e64_dpp v5, v1, |v7| quad_perm:[3,2,1,0] row_mask:0xf bank_mask:0xf ; encoding: [0x05,0x02,0x21,0xd7,0xfa,0x0e,0x02,0x00,0x01,0x1b,0x00,0xff]

v_cvt_pk_norm_i16_f32_e64_dpp v5, v1, -|v7| quad_perm:[3,2,1,0]
// GFX11: v_cvt_pk_norm_i16_f32_e64_dpp v5, v1, -|v7| quad_perm:[3,2,1,0] row_mask:0xf bank_mask:0xf ; encoding: [0x05,0x02,0x21,0xd7,0xfa,0x0e,0x02,0x40,0x01,0x1b,0x00,0xff]

v_cvt_pk_norm_i16_f32_e64_dpp v5, v1, v2 quad_perm:[3,2,1,0] bound_ctrl:0
// GFX11: v_cvt_pk_norm_i16_f32_e64_dpp v5, v1, v2 quad_perm:[3,2,1,0] row_mask:0xf bank_mask:0xf ; encoding: [0x05,0x00,0x21,0xd7,0xfa,0x04,0x02,0x00,0x01,0x1b,0x00,0xff]

v_cvt_pk_norm_i16_f32_e64_dpp v5, v1, v2 quad_perm:[3,2,1,0] bound_ctrl:1
// GFX11: v_cvt_pk_norm_i16_f32_e64_dpp v5, v1, v2 quad_perm:[3,2,1,0] row_mask:0xf bank_mask:0xf bound_ctrl:1 ; encoding: [0x05,0x00,0x21,0xd7,0xfa,0x04,0x02,0x00,0x01,0x1b,0x08,0xff]

v_cvt_pk_norm_i16_f32_e64_dpp v5, v1, v2 quad_perm:[0,1,2,3]
// GFX11: v_cvt_pk_norm_i16_f32_e64_dpp v5, v1, v2 quad_perm:[0,1,2,3] row_mask:0xf bank_mask:0xf ; encoding: [0x05,0x00,0x21,0xd7,0xfa,0x04,0x02,0x00,0x01,0xe4,0x00,0xff]

v_cvt_pk_norm_i16_f32_e64_dpp v5, v1, v2 row_half_mirror
// GFX11: v_cvt_pk_norm_i16_f32_e64_dpp v5, v1, v2 row_half_mirror row_mask:0xf bank_mask:0xf ; encoding: [0x05,0x00,0x21,0xd7,0xfa,0x04,0x02,0x00,0x01,0x41,0x01,0xff]

v_cvt_pk_norm_i16_f32_e64_dpp v5, v1, v2 row_mirror
// GFX11: v_cvt_pk_norm_i16_f32_e64_dpp v5, v1, v2 row_mirror row_mask:0xf bank_mask:0xf ; encoding: [0x05,0x00,0x21,0xd7,0xfa,0x04,0x02,0x00,0x01,0x40,0x01,0xff]

v_cvt_pk_norm_i16_f32_e64_dpp v5, v1, v2 row_ror:1
// GFX11: v_cvt_pk_norm_i16_f32_e64_dpp v5, v1, v2 row_ror:1 row_mask:0xf bank_mask:0xf ; encoding: [0x05,0x00,0x21,0xd7,0xfa,0x04,0x02,0x00,0x01,0x21,0x01,0xff]

v_cvt_pk_norm_i16_f32_e64_dpp v5, v1, v2 row_ror:15
// GFX11: v_cvt_pk_norm_i16_f32_e64_dpp v5, v1, v2 row_ror:15 row_mask:0xf bank_mask:0xf ; encoding: [0x05,0x00,0x21,0xd7,0xfa,0x04,0x02,0x00,0x01,0x2f,0x01,0xff]

v_cvt_pk_norm_i16_f32_e64_dpp v5, v1, v2 row_share:0
// GFX11: v_cvt_pk_norm_i16_f32_e64_dpp v5, v1, v2 row_share:0 row_mask:0xf bank_mask:0xf ; encoding: [0x05,0x00,0x21,0xd7,0xfa,0x04,0x02,0x00,0x01,0x50,0x01,0xff]

v_cvt_pk_norm_i16_f32_e64_dpp v5, v1, v2 row_share:15
// GFX11: v_cvt_pk_norm_i16_f32_e64_dpp v5, v1, v2 row_share:15 row_mask:0xf bank_mask:0xf ; encoding: [0x05,0x00,0x21,0xd7,0xfa,0x04,0x02,0x00,0x01,0x5f,0x01,0xff]

v_cvt_pk_norm_i16_f32_e64_dpp v5, v1, v2 row_shl:1
// GFX11: v_cvt_pk_norm_i16_f32_e64_dpp v5, v1, v2 row_shl:1 row_mask:0xf bank_mask:0xf ; encoding: [0x05,0x00,0x21,0xd7,0xfa,0x04,0x02,0x00,0x01,0x01,0x01,0xff]

v_cvt_pk_norm_i16_f32_e64_dpp v5, v1, v2 row_shl:15
// GFX11: v_cvt_pk_norm_i16_f32_e64_dpp v5, v1, v2 row_shl:15 row_mask:0xf bank_mask:0xf ; encoding: [0x05,0x00,0x21,0xd7,0xfa,0x04,0x02,0x00,0x01,0x0f,0x01,0xff]

v_cvt_pk_norm_i16_f32_e64_dpp v5, v1, v2 row_shr:1
// GFX11: v_cvt_pk_norm_i16_f32_e64_dpp v5, v1, v2 row_shr:1 row_mask:0xf bank_mask:0xf ; encoding: [0x05,0x00,0x21,0xd7,0xfa,0x04,0x02,0x00,0x01,0x11,0x01,0xff]

v_cvt_pk_norm_i16_f32_e64_dpp v5, v1, v2 row_shr:15
// GFX11: v_cvt_pk_norm_i16_f32_e64_dpp v5, v1, v2 row_shr:15 row_mask:0xf bank_mask:0xf ; encoding: [0x05,0x00,0x21,0xd7,0xfa,0x04,0x02,0x00,0x01,0x1f,0x01,0xff]

v_cvt_pk_norm_i16_f32_e64_dpp v5, v1, v2 row_xmask:0
// GFX11: v_cvt_pk_norm_i16_f32_e64_dpp v5, v1, v2 row_xmask:0 row_mask:0xf bank_mask:0xf ; encoding: [0x05,0x00,0x21,0xd7,0xfa,0x04,0x02,0x00,0x01,0x60,0x01,0xff]

v_cvt_pk_norm_i16_f32_e64_dpp v5, v1, v2 row_xmask:15
// GFX11: v_cvt_pk_norm_i16_f32_e64_dpp v5, v1, v2 row_xmask:15 row_mask:0xf bank_mask:0xf ; encoding: [0x05,0x00,0x21,0xd7,0xfa,0x04,0x02,0x00,0x01,0x6f,0x01,0xff]

v_cvt_pk_norm_i16_f32_e64_dpp v5, v1, v2 quad_perm:[3,2,1,0] fi:0
// GFX11: v_cvt_pk_norm_i16_f32_e64_dpp v5, v1, v2 quad_perm:[3,2,1,0] row_mask:0xf bank_mask:0xf ; encoding: [0x05,0x00,0x21,0xd7,0xfa,0x04,0x02,0x00,0x01,0x1b,0x00,0xff]

v_cvt_pk_norm_i16_f32_e64_dpp v5, v1, v2 quad_perm:[3,2,1,0] fi:1
// GFX11: v_cvt_pk_norm_i16_f32_e64_dpp v5, v1, v2 quad_perm:[3,2,1,0] row_mask:0xf bank_mask:0xf fi:1 ; encoding: [0x05,0x00,0x21,0xd7,0xfa,0x04,0x02,0x00,0x01,0x1b,0x04,0xff]

v_cvt_pk_norm_i16_f32_e64_dpp v5, v1, v2 quad_perm:[3,2,1,0] row_mask:0x0 bank_mask:0x1
// GFX11: v_cvt_pk_norm_i16_f32_e64_dpp v5, v1, v2 quad_perm:[3,2,1,0] row_mask:0x0 bank_mask:0x1 ; encoding: [0x05,0x00,0x21,0xd7,0xfa,0x04,0x02,0x00,0x01,0x1b,0x00,0x01]

v_cvt_pk_norm_i16_f32_e64_dpp v5, v1, v2 quad_perm:[3,2,1,0] row_mask:0x3 bank_mask:0x0
// GFX11: v_cvt_pk_norm_i16_f32_e64_dpp v5, v1, v2 quad_perm:[3,2,1,0] row_mask:0x3 bank_mask:0x0 ; encoding: [0x05,0x00,0x21,0xd7,0xfa,0x04,0x02,0x00,0x01,0x1b,0x00,0x30]
	;; [unrolled: 3-line block ×3, first 2 shown]

v_cvt_pk_norm_u16_f16_e64_dpp v5, v1.l, v2.l quad_perm:[3,2,1,0]
// GFX11: v_cvt_pk_norm_u16_f16_e64_dpp v5, v1.l, v2.l quad_perm:[3,2,1,0] row_mask:0xf bank_mask:0xf ; encoding: [0x05,0x00,0x13,0xd7,0xfa,0x04,0x02,0x00,0x01,0x1b,0x00,0xff]

v_cvt_pk_norm_u16_f16_e64_dpp v255, v255.l, v255.l quad_perm:[3,2,1,0]
// GFX11: v_cvt_pk_norm_u16_f16_e64_dpp v255, v255.l, v255.l quad_perm:[3,2,1,0] row_mask:0xf bank_mask:0xf ; encoding: [0xff,0x00,0x13,0xd7,0xfa,0xfe,0x03,0x00,0xff,0x1b,0x00,0xff]

v_cvt_pk_norm_u16_f16_e64_dpp v5, -v7.l, v2.l quad_perm:[3,2,1,0]
// GFX11: v_cvt_pk_norm_u16_f16_e64_dpp v5, -v7.l, v2.l quad_perm:[3,2,1,0] row_mask:0xf bank_mask:0xf ; encoding: [0x05,0x00,0x13,0xd7,0xfa,0x04,0x02,0x20,0x07,0x1b,0x00,0xff]

v_cvt_pk_norm_u16_f16_e64_dpp v5, |v7.l|, v2.l quad_perm:[3,2,1,0]
// GFX11: v_cvt_pk_norm_u16_f16_e64_dpp v5, |v7.l|, v2.l quad_perm:[3,2,1,0] row_mask:0xf bank_mask:0xf ; encoding: [0x05,0x01,0x13,0xd7,0xfa,0x04,0x02,0x00,0x07,0x1b,0x00,0xff]

v_cvt_pk_norm_u16_f16_e64_dpp v5, -|v7.l|, v2.l quad_perm:[3,2,1,0]
// GFX11: v_cvt_pk_norm_u16_f16_e64_dpp v5, -|v7.l|, v2.l quad_perm:[3,2,1,0] row_mask:0xf bank_mask:0xf ; encoding: [0x05,0x01,0x13,0xd7,0xfa,0x04,0x02,0x20,0x07,0x1b,0x00,0xff]

v_cvt_pk_norm_u16_f16_e64_dpp v5, v1.l, -v7.l quad_perm:[3,2,1,0]
// GFX11: v_cvt_pk_norm_u16_f16_e64_dpp v5, v1.l, -v7.l quad_perm:[3,2,1,0] row_mask:0xf bank_mask:0xf ; encoding: [0x05,0x00,0x13,0xd7,0xfa,0x0e,0x02,0x40,0x01,0x1b,0x00,0xff]

v_cvt_pk_norm_u16_f16_e64_dpp v5, v1.l, |v7.l| quad_perm:[3,2,1,0]
// GFX11: v_cvt_pk_norm_u16_f16_e64_dpp v5, v1.l, |v7.l| quad_perm:[3,2,1,0] row_mask:0xf bank_mask:0xf ; encoding: [0x05,0x02,0x13,0xd7,0xfa,0x0e,0x02,0x00,0x01,0x1b,0x00,0xff]

v_cvt_pk_norm_u16_f16_e64_dpp v5, v1.l, -|v7.l| quad_perm:[3,2,1,0]
// GFX11: v_cvt_pk_norm_u16_f16_e64_dpp v5, v1.l, -|v7.l| quad_perm:[3,2,1,0] row_mask:0xf bank_mask:0xf ; encoding: [0x05,0x02,0x13,0xd7,0xfa,0x0e,0x02,0x40,0x01,0x1b,0x00,0xff]

v_cvt_pk_norm_u16_f16_e64_dpp v5, v1.h, v2.l op_sel:[1,0,0] quad_perm:[3,2,1,0]
// GFX11: v_cvt_pk_norm_u16_f16_e64_dpp v5, v1.h, v2.l op_sel:[1,0,0] quad_perm:[3,2,1,0] row_mask:0xf bank_mask:0xf ; encoding: [0x05,0x08,0x13,0xd7,0xfa,0x04,0x02,0x00,0x01,0x1b,0x00,0xff]

v_cvt_pk_norm_u16_f16_e64_dpp v5, v1.l, v2.h op_sel:[0,1,0] quad_perm:[3,2,1,0]
// GFX11: v_cvt_pk_norm_u16_f16_e64_dpp v5, v1.l, v2.h op_sel:[0,1,0] quad_perm:[3,2,1,0] row_mask:0xf bank_mask:0xf ; encoding: [0x05,0x10,0x13,0xd7,0xfa,0x04,0x02,0x00,0x01,0x1b,0x00,0xff]

v_cvt_pk_norm_u16_f16_e64_dpp v5, v1.l, v2.l quad_perm:[3,2,1,0] bound_ctrl:0
// GFX11: v_cvt_pk_norm_u16_f16_e64_dpp v5, v1.l, v2.l quad_perm:[3,2,1,0] row_mask:0xf bank_mask:0xf ; encoding: [0x05,0x00,0x13,0xd7,0xfa,0x04,0x02,0x00,0x01,0x1b,0x00,0xff]

v_cvt_pk_norm_u16_f16_e64_dpp v5, v1.l, v2.l quad_perm:[3,2,1,0] bound_ctrl:1
// GFX11: v_cvt_pk_norm_u16_f16_e64_dpp v5, v1.l, v2.l quad_perm:[3,2,1,0] row_mask:0xf bank_mask:0xf bound_ctrl:1 ; encoding: [0x05,0x00,0x13,0xd7,0xfa,0x04,0x02,0x00,0x01,0x1b,0x08,0xff]

v_cvt_pk_norm_u16_f16_e64_dpp v5, v1.l, v2.l quad_perm:[0,1,2,3]
// GFX11: v_cvt_pk_norm_u16_f16_e64_dpp v5, v1.l, v2.l quad_perm:[0,1,2,3] row_mask:0xf bank_mask:0xf ; encoding: [0x05,0x00,0x13,0xd7,0xfa,0x04,0x02,0x00,0x01,0xe4,0x00,0xff]

v_cvt_pk_norm_u16_f16_e64_dpp v5, v1.l, v2.l row_half_mirror
// GFX11: v_cvt_pk_norm_u16_f16_e64_dpp v5, v1.l, v2.l row_half_mirror row_mask:0xf bank_mask:0xf ; encoding: [0x05,0x00,0x13,0xd7,0xfa,0x04,0x02,0x00,0x01,0x41,0x01,0xff]

v_cvt_pk_norm_u16_f16_e64_dpp v5, v1.l, v2.l row_mirror
// GFX11: v_cvt_pk_norm_u16_f16_e64_dpp v5, v1.l, v2.l row_mirror row_mask:0xf bank_mask:0xf ; encoding: [0x05,0x00,0x13,0xd7,0xfa,0x04,0x02,0x00,0x01,0x40,0x01,0xff]

v_cvt_pk_norm_u16_f16_e64_dpp v5, v1.l, v2.l row_ror:1
// GFX11: v_cvt_pk_norm_u16_f16_e64_dpp v5, v1.l, v2.l row_ror:1 row_mask:0xf bank_mask:0xf ; encoding: [0x05,0x00,0x13,0xd7,0xfa,0x04,0x02,0x00,0x01,0x21,0x01,0xff]

v_cvt_pk_norm_u16_f16_e64_dpp v5, v1.l, v2.l row_ror:15
// GFX11: v_cvt_pk_norm_u16_f16_e64_dpp v5, v1.l, v2.l row_ror:15 row_mask:0xf bank_mask:0xf ; encoding: [0x05,0x00,0x13,0xd7,0xfa,0x04,0x02,0x00,0x01,0x2f,0x01,0xff]

v_cvt_pk_norm_u16_f16_e64_dpp v5, v1.l, v2.l row_share:0
// GFX11: v_cvt_pk_norm_u16_f16_e64_dpp v5, v1.l, v2.l row_share:0 row_mask:0xf bank_mask:0xf ; encoding: [0x05,0x00,0x13,0xd7,0xfa,0x04,0x02,0x00,0x01,0x50,0x01,0xff]

v_cvt_pk_norm_u16_f16_e64_dpp v5, v1.l, v2.l row_share:15
// GFX11: v_cvt_pk_norm_u16_f16_e64_dpp v5, v1.l, v2.l row_share:15 row_mask:0xf bank_mask:0xf ; encoding: [0x05,0x00,0x13,0xd7,0xfa,0x04,0x02,0x00,0x01,0x5f,0x01,0xff]

v_cvt_pk_norm_u16_f16_e64_dpp v5, v1.l, v2.l row_shl:1
// GFX11: v_cvt_pk_norm_u16_f16_e64_dpp v5, v1.l, v2.l row_shl:1 row_mask:0xf bank_mask:0xf ; encoding: [0x05,0x00,0x13,0xd7,0xfa,0x04,0x02,0x00,0x01,0x01,0x01,0xff]

v_cvt_pk_norm_u16_f16_e64_dpp v5, v1.l, v2.l row_shl:15
// GFX11: v_cvt_pk_norm_u16_f16_e64_dpp v5, v1.l, v2.l row_shl:15 row_mask:0xf bank_mask:0xf ; encoding: [0x05,0x00,0x13,0xd7,0xfa,0x04,0x02,0x00,0x01,0x0f,0x01,0xff]

v_cvt_pk_norm_u16_f16_e64_dpp v5, v1.l, v2.l row_shr:1
// GFX11: v_cvt_pk_norm_u16_f16_e64_dpp v5, v1.l, v2.l row_shr:1 row_mask:0xf bank_mask:0xf ; encoding: [0x05,0x00,0x13,0xd7,0xfa,0x04,0x02,0x00,0x01,0x11,0x01,0xff]

v_cvt_pk_norm_u16_f16_e64_dpp v5, v1.l, v2.l row_shr:15
// GFX11: v_cvt_pk_norm_u16_f16_e64_dpp v5, v1.l, v2.l row_shr:15 row_mask:0xf bank_mask:0xf ; encoding: [0x05,0x00,0x13,0xd7,0xfa,0x04,0x02,0x00,0x01,0x1f,0x01,0xff]

v_cvt_pk_norm_u16_f16_e64_dpp v5, v1.l, v2.l row_xmask:0
// GFX11: v_cvt_pk_norm_u16_f16_e64_dpp v5, v1.l, v2.l row_xmask:0 row_mask:0xf bank_mask:0xf ; encoding: [0x05,0x00,0x13,0xd7,0xfa,0x04,0x02,0x00,0x01,0x60,0x01,0xff]

v_cvt_pk_norm_u16_f16_e64_dpp v5, v1.l, v2.l row_xmask:15
// GFX11: v_cvt_pk_norm_u16_f16_e64_dpp v5, v1.l, v2.l row_xmask:15 row_mask:0xf bank_mask:0xf ; encoding: [0x05,0x00,0x13,0xd7,0xfa,0x04,0x02,0x00,0x01,0x6f,0x01,0xff]

v_cvt_pk_norm_u16_f16_e64_dpp v5, v1.l, v2.l quad_perm:[3,2,1,0] fi:0
// GFX11: v_cvt_pk_norm_u16_f16_e64_dpp v5, v1.l, v2.l quad_perm:[3,2,1,0] row_mask:0xf bank_mask:0xf ; encoding: [0x05,0x00,0x13,0xd7,0xfa,0x04,0x02,0x00,0x01,0x1b,0x00,0xff]

v_cvt_pk_norm_u16_f16_e64_dpp v5, v1.l, v2.l quad_perm:[3,2,1,0] fi:1
// GFX11: v_cvt_pk_norm_u16_f16_e64_dpp v5, v1.l, v2.l quad_perm:[3,2,1,0] row_mask:0xf bank_mask:0xf fi:1 ; encoding: [0x05,0x00,0x13,0xd7,0xfa,0x04,0x02,0x00,0x01,0x1b,0x04,0xff]

v_cvt_pk_norm_u16_f16_e64_dpp v5, v1.l, v2.l quad_perm:[3,2,1,0] row_mask:0x0 bank_mask:0x1
// GFX11: v_cvt_pk_norm_u16_f16_e64_dpp v5, v1.l, v2.l quad_perm:[3,2,1,0] row_mask:0x0 bank_mask:0x1 ; encoding: [0x05,0x00,0x13,0xd7,0xfa,0x04,0x02,0x00,0x01,0x1b,0x00,0x01]

v_cvt_pk_norm_u16_f16_e64_dpp v5, v1.l, v2.l quad_perm:[3,2,1,0] row_mask:0x3 bank_mask:0x0
// GFX11: v_cvt_pk_norm_u16_f16_e64_dpp v5, v1.l, v2.l quad_perm:[3,2,1,0] row_mask:0x3 bank_mask:0x0 ; encoding: [0x05,0x00,0x13,0xd7,0xfa,0x04,0x02,0x00,0x01,0x1b,0x00,0x30]
	;; [unrolled: 3-line block ×3, first 2 shown]

v_cvt_pk_norm_u16_f16_e64_dpp v5, v1.l, v2.l clamp quad_perm:[3,2,1,0]
// GFX11: v_cvt_pk_norm_u16_f16_e64_dpp v5, v1.l, v2.l clamp quad_perm:[3,2,1,0] row_mask:0xf bank_mask:0xf ; encoding: [0x05,0x80,0x13,0xd7,0xfa,0x04,0x02,0x00,0x01,0x1b,0x00,0xff]

v_cvt_pk_norm_u16_f32_e64_dpp v5, v1, v2 quad_perm:[3,2,1,0]
// GFX11: v_cvt_pk_norm_u16_f32_e64_dpp v5, v1, v2 quad_perm:[3,2,1,0] row_mask:0xf bank_mask:0xf ; encoding: [0x05,0x00,0x22,0xd7,0xfa,0x04,0x02,0x00,0x01,0x1b,0x00,0xff]

v_cvt_pk_norm_u16_f32_e64_dpp v255, v255, v255 quad_perm:[3,2,1,0]
// GFX11: v_cvt_pk_norm_u16_f32_e64_dpp v255, v255, v255 quad_perm:[3,2,1,0] row_mask:0xf bank_mask:0xf ; encoding: [0xff,0x00,0x22,0xd7,0xfa,0xfe,0x03,0x00,0xff,0x1b,0x00,0xff]

v_cvt_pk_norm_u16_f32_e64_dpp v5, -v7, v2 quad_perm:[3,2,1,0]
// GFX11: v_cvt_pk_norm_u16_f32_e64_dpp v5, -v7, v2 quad_perm:[3,2,1,0] row_mask:0xf bank_mask:0xf ; encoding: [0x05,0x00,0x22,0xd7,0xfa,0x04,0x02,0x20,0x07,0x1b,0x00,0xff]

v_cvt_pk_norm_u16_f32_e64_dpp v5, |v7|, v2 quad_perm:[3,2,1,0]
// GFX11: v_cvt_pk_norm_u16_f32_e64_dpp v5, |v7|, v2 quad_perm:[3,2,1,0] row_mask:0xf bank_mask:0xf ; encoding: [0x05,0x01,0x22,0xd7,0xfa,0x04,0x02,0x00,0x07,0x1b,0x00,0xff]

v_cvt_pk_norm_u16_f32_e64_dpp v5, -|v7|, v2 quad_perm:[3,2,1,0]
// GFX11: v_cvt_pk_norm_u16_f32_e64_dpp v5, -|v7|, v2 quad_perm:[3,2,1,0] row_mask:0xf bank_mask:0xf ; encoding: [0x05,0x01,0x22,0xd7,0xfa,0x04,0x02,0x20,0x07,0x1b,0x00,0xff]

v_cvt_pk_norm_u16_f32_e64_dpp v5, v1, -v7 quad_perm:[3,2,1,0]
// GFX11: v_cvt_pk_norm_u16_f32_e64_dpp v5, v1, -v7 quad_perm:[3,2,1,0] row_mask:0xf bank_mask:0xf ; encoding: [0x05,0x00,0x22,0xd7,0xfa,0x0e,0x02,0x40,0x01,0x1b,0x00,0xff]

v_cvt_pk_norm_u16_f32_e64_dpp v5, v1, |v7| quad_perm:[3,2,1,0]
// GFX11: v_cvt_pk_norm_u16_f32_e64_dpp v5, v1, |v7| quad_perm:[3,2,1,0] row_mask:0xf bank_mask:0xf ; encoding: [0x05,0x02,0x22,0xd7,0xfa,0x0e,0x02,0x00,0x01,0x1b,0x00,0xff]

v_cvt_pk_norm_u16_f32_e64_dpp v5, v1, -|v7| quad_perm:[3,2,1,0]
// GFX11: v_cvt_pk_norm_u16_f32_e64_dpp v5, v1, -|v7| quad_perm:[3,2,1,0] row_mask:0xf bank_mask:0xf ; encoding: [0x05,0x02,0x22,0xd7,0xfa,0x0e,0x02,0x40,0x01,0x1b,0x00,0xff]

v_cvt_pk_norm_u16_f32_e64_dpp v5, v1, v2 quad_perm:[3,2,1,0] bound_ctrl:0
// GFX11: v_cvt_pk_norm_u16_f32_e64_dpp v5, v1, v2 quad_perm:[3,2,1,0] row_mask:0xf bank_mask:0xf ; encoding: [0x05,0x00,0x22,0xd7,0xfa,0x04,0x02,0x00,0x01,0x1b,0x00,0xff]

v_cvt_pk_norm_u16_f32_e64_dpp v5, v1, v2 quad_perm:[3,2,1,0] bound_ctrl:1
// GFX11: v_cvt_pk_norm_u16_f32_e64_dpp v5, v1, v2 quad_perm:[3,2,1,0] row_mask:0xf bank_mask:0xf bound_ctrl:1 ; encoding: [0x05,0x00,0x22,0xd7,0xfa,0x04,0x02,0x00,0x01,0x1b,0x08,0xff]

v_cvt_pk_norm_u16_f32_e64_dpp v5, v1, v2 quad_perm:[0,1,2,3]
// GFX11: v_cvt_pk_norm_u16_f32_e64_dpp v5, v1, v2 quad_perm:[0,1,2,3] row_mask:0xf bank_mask:0xf ; encoding: [0x05,0x00,0x22,0xd7,0xfa,0x04,0x02,0x00,0x01,0xe4,0x00,0xff]

v_cvt_pk_norm_u16_f32_e64_dpp v5, v1, v2 row_half_mirror
// GFX11: v_cvt_pk_norm_u16_f32_e64_dpp v5, v1, v2 row_half_mirror row_mask:0xf bank_mask:0xf ; encoding: [0x05,0x00,0x22,0xd7,0xfa,0x04,0x02,0x00,0x01,0x41,0x01,0xff]

v_cvt_pk_norm_u16_f32_e64_dpp v5, v1, v2 row_mirror
// GFX11: v_cvt_pk_norm_u16_f32_e64_dpp v5, v1, v2 row_mirror row_mask:0xf bank_mask:0xf ; encoding: [0x05,0x00,0x22,0xd7,0xfa,0x04,0x02,0x00,0x01,0x40,0x01,0xff]

v_cvt_pk_norm_u16_f32_e64_dpp v5, v1, v2 row_ror:1
// GFX11: v_cvt_pk_norm_u16_f32_e64_dpp v5, v1, v2 row_ror:1 row_mask:0xf bank_mask:0xf ; encoding: [0x05,0x00,0x22,0xd7,0xfa,0x04,0x02,0x00,0x01,0x21,0x01,0xff]

v_cvt_pk_norm_u16_f32_e64_dpp v5, v1, v2 row_ror:15
// GFX11: v_cvt_pk_norm_u16_f32_e64_dpp v5, v1, v2 row_ror:15 row_mask:0xf bank_mask:0xf ; encoding: [0x05,0x00,0x22,0xd7,0xfa,0x04,0x02,0x00,0x01,0x2f,0x01,0xff]

v_cvt_pk_norm_u16_f32_e64_dpp v5, v1, v2 row_share:0
// GFX11: v_cvt_pk_norm_u16_f32_e64_dpp v5, v1, v2 row_share:0 row_mask:0xf bank_mask:0xf ; encoding: [0x05,0x00,0x22,0xd7,0xfa,0x04,0x02,0x00,0x01,0x50,0x01,0xff]

v_cvt_pk_norm_u16_f32_e64_dpp v5, v1, v2 row_share:15
// GFX11: v_cvt_pk_norm_u16_f32_e64_dpp v5, v1, v2 row_share:15 row_mask:0xf bank_mask:0xf ; encoding: [0x05,0x00,0x22,0xd7,0xfa,0x04,0x02,0x00,0x01,0x5f,0x01,0xff]

v_cvt_pk_norm_u16_f32_e64_dpp v5, v1, v2 row_shl:1
// GFX11: v_cvt_pk_norm_u16_f32_e64_dpp v5, v1, v2 row_shl:1 row_mask:0xf bank_mask:0xf ; encoding: [0x05,0x00,0x22,0xd7,0xfa,0x04,0x02,0x00,0x01,0x01,0x01,0xff]

v_cvt_pk_norm_u16_f32_e64_dpp v5, v1, v2 row_shl:15
// GFX11: v_cvt_pk_norm_u16_f32_e64_dpp v5, v1, v2 row_shl:15 row_mask:0xf bank_mask:0xf ; encoding: [0x05,0x00,0x22,0xd7,0xfa,0x04,0x02,0x00,0x01,0x0f,0x01,0xff]

v_cvt_pk_norm_u16_f32_e64_dpp v5, v1, v2 row_shr:1
// GFX11: v_cvt_pk_norm_u16_f32_e64_dpp v5, v1, v2 row_shr:1 row_mask:0xf bank_mask:0xf ; encoding: [0x05,0x00,0x22,0xd7,0xfa,0x04,0x02,0x00,0x01,0x11,0x01,0xff]

v_cvt_pk_norm_u16_f32_e64_dpp v5, v1, v2 row_shr:15
// GFX11: v_cvt_pk_norm_u16_f32_e64_dpp v5, v1, v2 row_shr:15 row_mask:0xf bank_mask:0xf ; encoding: [0x05,0x00,0x22,0xd7,0xfa,0x04,0x02,0x00,0x01,0x1f,0x01,0xff]

v_cvt_pk_norm_u16_f32_e64_dpp v5, v1, v2 row_xmask:0
// GFX11: v_cvt_pk_norm_u16_f32_e64_dpp v5, v1, v2 row_xmask:0 row_mask:0xf bank_mask:0xf ; encoding: [0x05,0x00,0x22,0xd7,0xfa,0x04,0x02,0x00,0x01,0x60,0x01,0xff]

v_cvt_pk_norm_u16_f32_e64_dpp v5, v1, v2 row_xmask:15
// GFX11: v_cvt_pk_norm_u16_f32_e64_dpp v5, v1, v2 row_xmask:15 row_mask:0xf bank_mask:0xf ; encoding: [0x05,0x00,0x22,0xd7,0xfa,0x04,0x02,0x00,0x01,0x6f,0x01,0xff]

v_cvt_pk_norm_u16_f32_e64_dpp v5, v1, v2 quad_perm:[3,2,1,0] fi:0
// GFX11: v_cvt_pk_norm_u16_f32_e64_dpp v5, v1, v2 quad_perm:[3,2,1,0] row_mask:0xf bank_mask:0xf ; encoding: [0x05,0x00,0x22,0xd7,0xfa,0x04,0x02,0x00,0x01,0x1b,0x00,0xff]

v_cvt_pk_norm_u16_f32_e64_dpp v5, v1, v2 quad_perm:[3,2,1,0] fi:1
// GFX11: v_cvt_pk_norm_u16_f32_e64_dpp v5, v1, v2 quad_perm:[3,2,1,0] row_mask:0xf bank_mask:0xf fi:1 ; encoding: [0x05,0x00,0x22,0xd7,0xfa,0x04,0x02,0x00,0x01,0x1b,0x04,0xff]

v_cvt_pk_norm_u16_f32_e64_dpp v5, v1, v2 quad_perm:[3,2,1,0] row_mask:0x0 bank_mask:0x1
// GFX11: v_cvt_pk_norm_u16_f32_e64_dpp v5, v1, v2 quad_perm:[3,2,1,0] row_mask:0x0 bank_mask:0x1 ; encoding: [0x05,0x00,0x22,0xd7,0xfa,0x04,0x02,0x00,0x01,0x1b,0x00,0x01]

v_cvt_pk_norm_u16_f32_e64_dpp v5, v1, v2 quad_perm:[3,2,1,0] row_mask:0x3 bank_mask:0x0
// GFX11: v_cvt_pk_norm_u16_f32_e64_dpp v5, v1, v2 quad_perm:[3,2,1,0] row_mask:0x3 bank_mask:0x0 ; encoding: [0x05,0x00,0x22,0xd7,0xfa,0x04,0x02,0x00,0x01,0x1b,0x00,0x30]
	;; [unrolled: 3-line block ×3, first 2 shown]

v_cvt_pk_u16_f32_e64_dpp v5, v1, v2 quad_perm:[3,2,1,0]
// GFX11: v_cvt_pk_u16_f32_e64_dpp v5, v1, v2 quad_perm:[3,2,1,0] row_mask:0xf bank_mask:0xf ; encoding: [0x05,0x00,0x07,0xd7,0xfa,0x04,0x02,0x00,0x01,0x1b,0x00,0xff]

v_cvt_pk_u16_f32_e64_dpp v255, v255, v255 quad_perm:[3,2,1,0]
// GFX11: v_cvt_pk_u16_f32_e64_dpp v255, v255, v255 quad_perm:[3,2,1,0] row_mask:0xf bank_mask:0xf ; encoding: [0xff,0x00,0x07,0xd7,0xfa,0xfe,0x03,0x00,0xff,0x1b,0x00,0xff]

v_cvt_pk_u16_f32_e64_dpp v5, -v7, v2 quad_perm:[3,2,1,0]
// GFX11: v_cvt_pk_u16_f32_e64_dpp v5, -v7, v2 quad_perm:[3,2,1,0] row_mask:0xf bank_mask:0xf ; encoding: [0x05,0x00,0x07,0xd7,0xfa,0x04,0x02,0x20,0x07,0x1b,0x00,0xff]

v_cvt_pk_u16_f32_e64_dpp v5, |v7|, v2 quad_perm:[3,2,1,0]
// GFX11: v_cvt_pk_u16_f32_e64_dpp v5, |v7|, v2 quad_perm:[3,2,1,0] row_mask:0xf bank_mask:0xf ; encoding: [0x05,0x01,0x07,0xd7,0xfa,0x04,0x02,0x00,0x07,0x1b,0x00,0xff]

v_cvt_pk_u16_f32_e64_dpp v5, -|v7|, v2 quad_perm:[3,2,1,0]
// GFX11: v_cvt_pk_u16_f32_e64_dpp v5, -|v7|, v2 quad_perm:[3,2,1,0] row_mask:0xf bank_mask:0xf ; encoding: [0x05,0x01,0x07,0xd7,0xfa,0x04,0x02,0x20,0x07,0x1b,0x00,0xff]

v_cvt_pk_u16_f32_e64_dpp v5, v1, -v7 quad_perm:[3,2,1,0]
// GFX11: v_cvt_pk_u16_f32_e64_dpp v5, v1, -v7 quad_perm:[3,2,1,0] row_mask:0xf bank_mask:0xf ; encoding: [0x05,0x00,0x07,0xd7,0xfa,0x0e,0x02,0x40,0x01,0x1b,0x00,0xff]

v_cvt_pk_u16_f32_e64_dpp v5, v1, |v7| quad_perm:[3,2,1,0]
// GFX11: v_cvt_pk_u16_f32_e64_dpp v5, v1, |v7| quad_perm:[3,2,1,0] row_mask:0xf bank_mask:0xf ; encoding: [0x05,0x02,0x07,0xd7,0xfa,0x0e,0x02,0x00,0x01,0x1b,0x00,0xff]

v_cvt_pk_u16_f32_e64_dpp v5, v1, -|v7| quad_perm:[3,2,1,0]
// GFX11: v_cvt_pk_u16_f32_e64_dpp v5, v1, -|v7| quad_perm:[3,2,1,0] row_mask:0xf bank_mask:0xf ; encoding: [0x05,0x02,0x07,0xd7,0xfa,0x0e,0x02,0x40,0x01,0x1b,0x00,0xff]

v_cvt_pk_u16_f32_e64_dpp v5, v1, v2 quad_perm:[3,2,1,0] bound_ctrl:0
// GFX11: v_cvt_pk_u16_f32_e64_dpp v5, v1, v2 quad_perm:[3,2,1,0] row_mask:0xf bank_mask:0xf ; encoding: [0x05,0x00,0x07,0xd7,0xfa,0x04,0x02,0x00,0x01,0x1b,0x00,0xff]

v_cvt_pk_u16_f32_e64_dpp v5, v1, v2 quad_perm:[3,2,1,0] bound_ctrl:1
// GFX11: v_cvt_pk_u16_f32_e64_dpp v5, v1, v2 quad_perm:[3,2,1,0] row_mask:0xf bank_mask:0xf bound_ctrl:1 ; encoding: [0x05,0x00,0x07,0xd7,0xfa,0x04,0x02,0x00,0x01,0x1b,0x08,0xff]

v_cvt_pk_u16_f32_e64_dpp v5, v1, v2 quad_perm:[0,1,2,3]
// GFX11: v_cvt_pk_u16_f32_e64_dpp v5, v1, v2 quad_perm:[0,1,2,3] row_mask:0xf bank_mask:0xf ; encoding: [0x05,0x00,0x07,0xd7,0xfa,0x04,0x02,0x00,0x01,0xe4,0x00,0xff]

v_cvt_pk_u16_f32_e64_dpp v5, v1, v2 row_half_mirror
// GFX11: v_cvt_pk_u16_f32_e64_dpp v5, v1, v2 row_half_mirror row_mask:0xf bank_mask:0xf ; encoding: [0x05,0x00,0x07,0xd7,0xfa,0x04,0x02,0x00,0x01,0x41,0x01,0xff]

v_cvt_pk_u16_f32_e64_dpp v5, v1, v2 row_mirror
// GFX11: v_cvt_pk_u16_f32_e64_dpp v5, v1, v2 row_mirror row_mask:0xf bank_mask:0xf ; encoding: [0x05,0x00,0x07,0xd7,0xfa,0x04,0x02,0x00,0x01,0x40,0x01,0xff]

v_cvt_pk_u16_f32_e64_dpp v5, v1, v2 row_ror:1
// GFX11: v_cvt_pk_u16_f32_e64_dpp v5, v1, v2 row_ror:1 row_mask:0xf bank_mask:0xf ; encoding: [0x05,0x00,0x07,0xd7,0xfa,0x04,0x02,0x00,0x01,0x21,0x01,0xff]

v_cvt_pk_u16_f32_e64_dpp v5, v1, v2 row_ror:15
// GFX11: v_cvt_pk_u16_f32_e64_dpp v5, v1, v2 row_ror:15 row_mask:0xf bank_mask:0xf ; encoding: [0x05,0x00,0x07,0xd7,0xfa,0x04,0x02,0x00,0x01,0x2f,0x01,0xff]

v_cvt_pk_u16_f32_e64_dpp v5, v1, v2 row_share:0
// GFX11: v_cvt_pk_u16_f32_e64_dpp v5, v1, v2 row_share:0 row_mask:0xf bank_mask:0xf ; encoding: [0x05,0x00,0x07,0xd7,0xfa,0x04,0x02,0x00,0x01,0x50,0x01,0xff]

v_cvt_pk_u16_f32_e64_dpp v5, v1, v2 row_share:15
// GFX11: v_cvt_pk_u16_f32_e64_dpp v5, v1, v2 row_share:15 row_mask:0xf bank_mask:0xf ; encoding: [0x05,0x00,0x07,0xd7,0xfa,0x04,0x02,0x00,0x01,0x5f,0x01,0xff]

v_cvt_pk_u16_f32_e64_dpp v5, v1, v2 row_shl:1
// GFX11: v_cvt_pk_u16_f32_e64_dpp v5, v1, v2 row_shl:1 row_mask:0xf bank_mask:0xf ; encoding: [0x05,0x00,0x07,0xd7,0xfa,0x04,0x02,0x00,0x01,0x01,0x01,0xff]

v_cvt_pk_u16_f32_e64_dpp v5, v1, v2 row_shl:15
// GFX11: v_cvt_pk_u16_f32_e64_dpp v5, v1, v2 row_shl:15 row_mask:0xf bank_mask:0xf ; encoding: [0x05,0x00,0x07,0xd7,0xfa,0x04,0x02,0x00,0x01,0x0f,0x01,0xff]

v_cvt_pk_u16_f32_e64_dpp v5, v1, v2 row_shr:1
// GFX11: v_cvt_pk_u16_f32_e64_dpp v5, v1, v2 row_shr:1 row_mask:0xf bank_mask:0xf ; encoding: [0x05,0x00,0x07,0xd7,0xfa,0x04,0x02,0x00,0x01,0x11,0x01,0xff]

v_cvt_pk_u16_f32_e64_dpp v5, v1, v2 row_shr:15
// GFX11: v_cvt_pk_u16_f32_e64_dpp v5, v1, v2 row_shr:15 row_mask:0xf bank_mask:0xf ; encoding: [0x05,0x00,0x07,0xd7,0xfa,0x04,0x02,0x00,0x01,0x1f,0x01,0xff]

v_cvt_pk_u16_f32_e64_dpp v5, v1, v2 row_xmask:0
// GFX11: v_cvt_pk_u16_f32_e64_dpp v5, v1, v2 row_xmask:0 row_mask:0xf bank_mask:0xf ; encoding: [0x05,0x00,0x07,0xd7,0xfa,0x04,0x02,0x00,0x01,0x60,0x01,0xff]

v_cvt_pk_u16_f32_e64_dpp v5, v1, v2 row_xmask:15
// GFX11: v_cvt_pk_u16_f32_e64_dpp v5, v1, v2 row_xmask:15 row_mask:0xf bank_mask:0xf ; encoding: [0x05,0x00,0x07,0xd7,0xfa,0x04,0x02,0x00,0x01,0x6f,0x01,0xff]

v_cvt_pk_u16_f32_e64_dpp v5, v1, v2 quad_perm:[3,2,1,0] fi:0
// GFX11: v_cvt_pk_u16_f32_e64_dpp v5, v1, v2 quad_perm:[3,2,1,0] row_mask:0xf bank_mask:0xf ; encoding: [0x05,0x00,0x07,0xd7,0xfa,0x04,0x02,0x00,0x01,0x1b,0x00,0xff]

v_cvt_pk_u16_f32_e64_dpp v5, v1, v2 quad_perm:[3,2,1,0] fi:1
// GFX11: v_cvt_pk_u16_f32_e64_dpp v5, v1, v2 quad_perm:[3,2,1,0] row_mask:0xf bank_mask:0xf fi:1 ; encoding: [0x05,0x00,0x07,0xd7,0xfa,0x04,0x02,0x00,0x01,0x1b,0x04,0xff]

v_cvt_pk_u16_f32_e64_dpp v5, v1, v2 quad_perm:[3,2,1,0] row_mask:0x0 bank_mask:0x1
// GFX11: v_cvt_pk_u16_f32_e64_dpp v5, v1, v2 quad_perm:[3,2,1,0] row_mask:0x0 bank_mask:0x1 ; encoding: [0x05,0x00,0x07,0xd7,0xfa,0x04,0x02,0x00,0x01,0x1b,0x00,0x01]

v_cvt_pk_u16_f32_e64_dpp v5, v1, v2 quad_perm:[3,2,1,0] row_mask:0x3 bank_mask:0x0
// GFX11: v_cvt_pk_u16_f32_e64_dpp v5, v1, v2 quad_perm:[3,2,1,0] row_mask:0x3 bank_mask:0x0 ; encoding: [0x05,0x00,0x07,0xd7,0xfa,0x04,0x02,0x00,0x01,0x1b,0x00,0x30]
	;; [unrolled: 3-line block ×3, first 2 shown]

v_cvt_pk_u16_u32_e64_dpp v5, v1, v2 quad_perm:[3,2,1,0]
// GFX11: v_cvt_pk_u16_u32_e64_dpp v5, v1, v2 quad_perm:[3,2,1,0] row_mask:0xf bank_mask:0xf ; encoding: [0x05,0x00,0x23,0xd7,0xfa,0x04,0x02,0x00,0x01,0x1b,0x00,0xff]

v_cvt_pk_u16_u32_e64_dpp v255, v255, v255 quad_perm:[3,2,1,0]
// GFX11: v_cvt_pk_u16_u32_e64_dpp v255, v255, v255 quad_perm:[3,2,1,0] row_mask:0xf bank_mask:0xf ; encoding: [0xff,0x00,0x23,0xd7,0xfa,0xfe,0x03,0x00,0xff,0x1b,0x00,0xff]

v_cvt_pk_u16_u32_e64_dpp v5, v1, v2 quad_perm:[3,2,1,0] bound_ctrl:0
// GFX11: v_cvt_pk_u16_u32_e64_dpp v5, v1, v2 quad_perm:[3,2,1,0] row_mask:0xf bank_mask:0xf ; encoding: [0x05,0x00,0x23,0xd7,0xfa,0x04,0x02,0x00,0x01,0x1b,0x00,0xff]

v_cvt_pk_u16_u32_e64_dpp v5, v1, v2 quad_perm:[3,2,1,0] bound_ctrl:1
// GFX11: v_cvt_pk_u16_u32_e64_dpp v5, v1, v2 quad_perm:[3,2,1,0] row_mask:0xf bank_mask:0xf bound_ctrl:1 ; encoding: [0x05,0x00,0x23,0xd7,0xfa,0x04,0x02,0x00,0x01,0x1b,0x08,0xff]

v_cvt_pk_u16_u32_e64_dpp v5, v1, v2 quad_perm:[0,1,2,3]
// GFX11: v_cvt_pk_u16_u32_e64_dpp v5, v1, v2 quad_perm:[0,1,2,3] row_mask:0xf bank_mask:0xf ; encoding: [0x05,0x00,0x23,0xd7,0xfa,0x04,0x02,0x00,0x01,0xe4,0x00,0xff]

v_cvt_pk_u16_u32_e64_dpp v5, v1, v2 row_half_mirror
// GFX11: v_cvt_pk_u16_u32_e64_dpp v5, v1, v2 row_half_mirror row_mask:0xf bank_mask:0xf ; encoding: [0x05,0x00,0x23,0xd7,0xfa,0x04,0x02,0x00,0x01,0x41,0x01,0xff]

v_cvt_pk_u16_u32_e64_dpp v5, v1, v2 row_mirror
// GFX11: v_cvt_pk_u16_u32_e64_dpp v5, v1, v2 row_mirror row_mask:0xf bank_mask:0xf ; encoding: [0x05,0x00,0x23,0xd7,0xfa,0x04,0x02,0x00,0x01,0x40,0x01,0xff]

v_cvt_pk_u16_u32_e64_dpp v5, v1, v2 row_ror:1
// GFX11: v_cvt_pk_u16_u32_e64_dpp v5, v1, v2 row_ror:1 row_mask:0xf bank_mask:0xf ; encoding: [0x05,0x00,0x23,0xd7,0xfa,0x04,0x02,0x00,0x01,0x21,0x01,0xff]

v_cvt_pk_u16_u32_e64_dpp v5, v1, v2 row_ror:15
// GFX11: v_cvt_pk_u16_u32_e64_dpp v5, v1, v2 row_ror:15 row_mask:0xf bank_mask:0xf ; encoding: [0x05,0x00,0x23,0xd7,0xfa,0x04,0x02,0x00,0x01,0x2f,0x01,0xff]

v_cvt_pk_u16_u32_e64_dpp v5, v1, v2 row_share:0
// GFX11: v_cvt_pk_u16_u32_e64_dpp v5, v1, v2 row_share:0 row_mask:0xf bank_mask:0xf ; encoding: [0x05,0x00,0x23,0xd7,0xfa,0x04,0x02,0x00,0x01,0x50,0x01,0xff]

v_cvt_pk_u16_u32_e64_dpp v5, v1, v2 row_share:15
// GFX11: v_cvt_pk_u16_u32_e64_dpp v5, v1, v2 row_share:15 row_mask:0xf bank_mask:0xf ; encoding: [0x05,0x00,0x23,0xd7,0xfa,0x04,0x02,0x00,0x01,0x5f,0x01,0xff]

v_cvt_pk_u16_u32_e64_dpp v5, v1, v2 row_shl:1
// GFX11: v_cvt_pk_u16_u32_e64_dpp v5, v1, v2 row_shl:1 row_mask:0xf bank_mask:0xf ; encoding: [0x05,0x00,0x23,0xd7,0xfa,0x04,0x02,0x00,0x01,0x01,0x01,0xff]

v_cvt_pk_u16_u32_e64_dpp v5, v1, v2 row_shl:15
// GFX11: v_cvt_pk_u16_u32_e64_dpp v5, v1, v2 row_shl:15 row_mask:0xf bank_mask:0xf ; encoding: [0x05,0x00,0x23,0xd7,0xfa,0x04,0x02,0x00,0x01,0x0f,0x01,0xff]

v_cvt_pk_u16_u32_e64_dpp v5, v1, v2 row_shr:1
// GFX11: v_cvt_pk_u16_u32_e64_dpp v5, v1, v2 row_shr:1 row_mask:0xf bank_mask:0xf ; encoding: [0x05,0x00,0x23,0xd7,0xfa,0x04,0x02,0x00,0x01,0x11,0x01,0xff]

v_cvt_pk_u16_u32_e64_dpp v5, v1, v2 row_shr:15
// GFX11: v_cvt_pk_u16_u32_e64_dpp v5, v1, v2 row_shr:15 row_mask:0xf bank_mask:0xf ; encoding: [0x05,0x00,0x23,0xd7,0xfa,0x04,0x02,0x00,0x01,0x1f,0x01,0xff]

v_cvt_pk_u16_u32_e64_dpp v5, v1, v2 row_xmask:0
// GFX11: v_cvt_pk_u16_u32_e64_dpp v5, v1, v2 row_xmask:0 row_mask:0xf bank_mask:0xf ; encoding: [0x05,0x00,0x23,0xd7,0xfa,0x04,0x02,0x00,0x01,0x60,0x01,0xff]

v_cvt_pk_u16_u32_e64_dpp v5, v1, v2 row_xmask:15
// GFX11: v_cvt_pk_u16_u32_e64_dpp v5, v1, v2 row_xmask:15 row_mask:0xf bank_mask:0xf ; encoding: [0x05,0x00,0x23,0xd7,0xfa,0x04,0x02,0x00,0x01,0x6f,0x01,0xff]

v_cvt_pk_u16_u32_e64_dpp v5, v1, v2 quad_perm:[3,2,1,0] fi:0
// GFX11: v_cvt_pk_u16_u32_e64_dpp v5, v1, v2 quad_perm:[3,2,1,0] row_mask:0xf bank_mask:0xf ; encoding: [0x05,0x00,0x23,0xd7,0xfa,0x04,0x02,0x00,0x01,0x1b,0x00,0xff]

v_cvt_pk_u16_u32_e64_dpp v5, v1, v2 quad_perm:[3,2,1,0] fi:1
// GFX11: v_cvt_pk_u16_u32_e64_dpp v5, v1, v2 quad_perm:[3,2,1,0] row_mask:0xf bank_mask:0xf fi:1 ; encoding: [0x05,0x00,0x23,0xd7,0xfa,0x04,0x02,0x00,0x01,0x1b,0x04,0xff]

v_cvt_pk_u16_u32_e64_dpp v5, v1, v2 quad_perm:[3,2,1,0] row_mask:0x0 bank_mask:0x1
// GFX11: v_cvt_pk_u16_u32_e64_dpp v5, v1, v2 quad_perm:[3,2,1,0] row_mask:0x0 bank_mask:0x1 ; encoding: [0x05,0x00,0x23,0xd7,0xfa,0x04,0x02,0x00,0x01,0x1b,0x00,0x01]

v_cvt_pk_u16_u32_e64_dpp v5, v1, v2 quad_perm:[3,2,1,0] row_mask:0x3 bank_mask:0x0
// GFX11: v_cvt_pk_u16_u32_e64_dpp v5, v1, v2 quad_perm:[3,2,1,0] row_mask:0x3 bank_mask:0x0 ; encoding: [0x05,0x00,0x23,0xd7,0xfa,0x04,0x02,0x00,0x01,0x1b,0x00,0x30]
	;; [unrolled: 3-line block ×3, first 2 shown]

v_cvt_pk_u8_f32_e64_dpp v5, v1, v2, v3 quad_perm:[3,2,1,0]
// GFX11: v_cvt_pk_u8_f32_e64_dpp v5, v1, v2, v3 quad_perm:[3,2,1,0] row_mask:0xf bank_mask:0xf ; encoding: [0x05,0x00,0x26,0xd6,0xfa,0x04,0x0e,0x04,0x01,0x1b,0x00,0xff]

v_cvt_pk_u8_f32_e64_dpp v255, v255, v255, v255 quad_perm:[3,2,1,0]
// GFX11: v_cvt_pk_u8_f32_e64_dpp v255, v255, v255, v255 quad_perm:[3,2,1,0] row_mask:0xf bank_mask:0xf ; encoding: [0xff,0x00,0x26,0xd6,0xfa,0xfe,0xff,0x07,0xff,0x1b,0x00,0xff]

v_cvt_pk_u8_f32_e64_dpp v5, -v7, v2, v3 quad_perm:[3,2,1,0]
// GFX11: v_cvt_pk_u8_f32_e64_dpp v5, -v7, v2, v3 quad_perm:[3,2,1,0] row_mask:0xf bank_mask:0xf ; encoding: [0x05,0x00,0x26,0xd6,0xfa,0x04,0x0e,0x24,0x07,0x1b,0x00,0xff]

v_cvt_pk_u8_f32_e64_dpp v5, |v7|, v2, v3 quad_perm:[3,2,1,0]
// GFX11: v_cvt_pk_u8_f32_e64_dpp v5, |v7|, v2, v3 quad_perm:[3,2,1,0] row_mask:0xf bank_mask:0xf ; encoding: [0x05,0x01,0x26,0xd6,0xfa,0x04,0x0e,0x04,0x07,0x1b,0x00,0xff]

v_cvt_pk_u8_f32_e64_dpp v5, -|v7|, v2, v3 quad_perm:[3,2,1,0]
// GFX11: v_cvt_pk_u8_f32_e64_dpp v5, -|v7|, v2, v3 quad_perm:[3,2,1,0] row_mask:0xf bank_mask:0xf ; encoding: [0x05,0x01,0x26,0xd6,0xfa,0x04,0x0e,0x24,0x07,0x1b,0x00,0xff]

v_cvt_pk_u8_f32_e64_dpp v5, v1, v2, -1 quad_perm:[3,2,1,0]
// GFX11: v_cvt_pk_u8_f32_e64_dpp v5, v1, v2, -1 quad_perm:[3,2,1,0] row_mask:0xf bank_mask:0xf ; encoding: [0x05,0x00,0x26,0xd6,0xfa,0x04,0x06,0x03,0x01,0x1b,0x00,0xff]

v_cvt_pk_u8_f32_e64_dpp v5, v1, v2, 0.5 quad_perm:[3,2,1,0]
// GFX11: v_cvt_pk_u8_f32_e64_dpp v5, v1, v2, 0.5 quad_perm:[3,2,1,0] row_mask:0xf bank_mask:0xf ; encoding: [0x05,0x00,0x26,0xd6,0xfa,0x04,0xc2,0x03,0x01,0x1b,0x00,0xff]

v_cvt_pk_u8_f32_e64_dpp v5, v1, v2, exec_hi quad_perm:[3,2,1,0]
// GFX11: v_cvt_pk_u8_f32_e64_dpp v5, v1, v2, exec_hi quad_perm:[3,2,1,0] row_mask:0xf bank_mask:0xf ; encoding: [0x05,0x00,0x26,0xd6,0xfa,0x04,0xfe,0x01,0x01,0x1b,0x00,0xff]

v_cvt_pk_u8_f32_e64_dpp v5, v1, v2, exec_lo quad_perm:[3,2,1,0]
// GFX11: v_cvt_pk_u8_f32_e64_dpp v5, v1, v2, exec_lo quad_perm:[3,2,1,0] row_mask:0xf bank_mask:0xf ; encoding: [0x05,0x00,0x26,0xd6,0xfa,0x04,0xfa,0x01,0x01,0x1b,0x00,0xff]

v_cvt_pk_u8_f32_e64_dpp v5, v1, v2, m0 quad_perm:[3,2,1,0]
// GFX11: v_cvt_pk_u8_f32_e64_dpp v5, v1, v2, m0 quad_perm:[3,2,1,0] row_mask:0xf bank_mask:0xf ; encoding: [0x05,0x00,0x26,0xd6,0xfa,0x04,0xf6,0x01,0x01,0x1b,0x00,0xff]

v_cvt_pk_u8_f32_e64_dpp v5, v1, v2, null quad_perm:[3,2,1,0]
// GFX11: v_cvt_pk_u8_f32_e64_dpp v5, v1, v2, null quad_perm:[3,2,1,0] row_mask:0xf bank_mask:0xf ; encoding: [0x05,0x00,0x26,0xd6,0xfa,0x04,0xf2,0x01,0x01,0x1b,0x00,0xff]

v_cvt_pk_u8_f32_e64_dpp v5, v1, v2, s105 quad_perm:[3,2,1,0]
// GFX11: v_cvt_pk_u8_f32_e64_dpp v5, v1, v2, s105 quad_perm:[3,2,1,0] row_mask:0xf bank_mask:0xf ; encoding: [0x05,0x00,0x26,0xd6,0xfa,0x04,0xa6,0x01,0x01,0x1b,0x00,0xff]

v_cvt_pk_u8_f32_e64_dpp v5, v1, v2, s3 quad_perm:[3,2,1,0]
// GFX11: v_cvt_pk_u8_f32_e64_dpp v5, v1, v2, s3 quad_perm:[3,2,1,0] row_mask:0xf bank_mask:0xf ; encoding: [0x05,0x00,0x26,0xd6,0xfa,0x04,0x0e,0x00,0x01,0x1b,0x00,0xff]

v_cvt_pk_u8_f32_e64_dpp v5, v1, v2, src_scc quad_perm:[3,2,1,0]
// GFX11: v_cvt_pk_u8_f32_e64_dpp v5, v1, v2, src_scc quad_perm:[3,2,1,0] row_mask:0xf bank_mask:0xf ; encoding: [0x05,0x00,0x26,0xd6,0xfa,0x04,0xf6,0x03,0x01,0x1b,0x00,0xff]

v_cvt_pk_u8_f32_e64_dpp v5, v1, v2, ttmp15 quad_perm:[3,2,1,0]
// GFX11: v_cvt_pk_u8_f32_e64_dpp v5, v1, v2, ttmp15 quad_perm:[3,2,1,0] row_mask:0xf bank_mask:0xf ; encoding: [0x05,0x00,0x26,0xd6,0xfa,0x04,0xee,0x01,0x01,0x1b,0x00,0xff]

v_cvt_pk_u8_f32_e64_dpp v5, v1, v2, v255 quad_perm:[3,2,1,0]
// GFX11: v_cvt_pk_u8_f32_e64_dpp v5, v1, v2, v255 quad_perm:[3,2,1,0] row_mask:0xf bank_mask:0xf ; encoding: [0x05,0x00,0x26,0xd6,0xfa,0x04,0xfe,0x07,0x01,0x1b,0x00,0xff]

v_cvt_pk_u8_f32_e64_dpp v5, v1, v2, vcc_hi quad_perm:[3,2,1,0]
// GFX11: v_cvt_pk_u8_f32_e64_dpp v5, v1, v2, vcc_hi quad_perm:[3,2,1,0] row_mask:0xf bank_mask:0xf ; encoding: [0x05,0x00,0x26,0xd6,0xfa,0x04,0xae,0x01,0x01,0x1b,0x00,0xff]

v_cvt_pk_u8_f32_e64_dpp v5, v1, v2, vcc_lo quad_perm:[3,2,1,0]
// GFX11: v_cvt_pk_u8_f32_e64_dpp v5, v1, v2, vcc_lo quad_perm:[3,2,1,0] row_mask:0xf bank_mask:0xf ; encoding: [0x05,0x00,0x26,0xd6,0xfa,0x04,0xaa,0x01,0x01,0x1b,0x00,0xff]

v_cvt_pk_u8_f32_e64_dpp v5, v1, v2, v3 quad_perm:[3,2,1,0] bound_ctrl:0
// GFX11: v_cvt_pk_u8_f32_e64_dpp v5, v1, v2, v3 quad_perm:[3,2,1,0] row_mask:0xf bank_mask:0xf ; encoding: [0x05,0x00,0x26,0xd6,0xfa,0x04,0x0e,0x04,0x01,0x1b,0x00,0xff]

v_cvt_pk_u8_f32_e64_dpp v5, v1, v2, v3 quad_perm:[3,2,1,0] bound_ctrl:1
// GFX11: v_cvt_pk_u8_f32_e64_dpp v5, v1, v2, v3 quad_perm:[3,2,1,0] row_mask:0xf bank_mask:0xf bound_ctrl:1 ; encoding: [0x05,0x00,0x26,0xd6,0xfa,0x04,0x0e,0x04,0x01,0x1b,0x08,0xff]

v_cvt_pk_u8_f32_e64_dpp v5, v1, v2, v3 quad_perm:[0,1,2,3]
// GFX11: v_cvt_pk_u8_f32_e64_dpp v5, v1, v2, v3 quad_perm:[0,1,2,3] row_mask:0xf bank_mask:0xf ; encoding: [0x05,0x00,0x26,0xd6,0xfa,0x04,0x0e,0x04,0x01,0xe4,0x00,0xff]

v_cvt_pk_u8_f32_e64_dpp v5, v1, v2, v3 row_half_mirror
// GFX11: v_cvt_pk_u8_f32_e64_dpp v5, v1, v2, v3 row_half_mirror row_mask:0xf bank_mask:0xf ; encoding: [0x05,0x00,0x26,0xd6,0xfa,0x04,0x0e,0x04,0x01,0x41,0x01,0xff]

v_cvt_pk_u8_f32_e64_dpp v5, v1, v2, v3 row_mirror
// GFX11: v_cvt_pk_u8_f32_e64_dpp v5, v1, v2, v3 row_mirror row_mask:0xf bank_mask:0xf ; encoding: [0x05,0x00,0x26,0xd6,0xfa,0x04,0x0e,0x04,0x01,0x40,0x01,0xff]

v_cvt_pk_u8_f32_e64_dpp v5, v1, v2, v3 row_ror:1
// GFX11: v_cvt_pk_u8_f32_e64_dpp v5, v1, v2, v3 row_ror:1 row_mask:0xf bank_mask:0xf ; encoding: [0x05,0x00,0x26,0xd6,0xfa,0x04,0x0e,0x04,0x01,0x21,0x01,0xff]

v_cvt_pk_u8_f32_e64_dpp v5, v1, v2, v3 row_ror:15
// GFX11: v_cvt_pk_u8_f32_e64_dpp v5, v1, v2, v3 row_ror:15 row_mask:0xf bank_mask:0xf ; encoding: [0x05,0x00,0x26,0xd6,0xfa,0x04,0x0e,0x04,0x01,0x2f,0x01,0xff]

v_cvt_pk_u8_f32_e64_dpp v5, v1, v2, v3 row_share:0
// GFX11: v_cvt_pk_u8_f32_e64_dpp v5, v1, v2, v3 row_share:0 row_mask:0xf bank_mask:0xf ; encoding: [0x05,0x00,0x26,0xd6,0xfa,0x04,0x0e,0x04,0x01,0x50,0x01,0xff]

v_cvt_pk_u8_f32_e64_dpp v5, v1, v2, v3 row_share:15
// GFX11: v_cvt_pk_u8_f32_e64_dpp v5, v1, v2, v3 row_share:15 row_mask:0xf bank_mask:0xf ; encoding: [0x05,0x00,0x26,0xd6,0xfa,0x04,0x0e,0x04,0x01,0x5f,0x01,0xff]

v_cvt_pk_u8_f32_e64_dpp v5, v1, v2, v3 row_shl:1
// GFX11: v_cvt_pk_u8_f32_e64_dpp v5, v1, v2, v3 row_shl:1 row_mask:0xf bank_mask:0xf ; encoding: [0x05,0x00,0x26,0xd6,0xfa,0x04,0x0e,0x04,0x01,0x01,0x01,0xff]

v_cvt_pk_u8_f32_e64_dpp v5, v1, v2, v3 row_shl:15
// GFX11: v_cvt_pk_u8_f32_e64_dpp v5, v1, v2, v3 row_shl:15 row_mask:0xf bank_mask:0xf ; encoding: [0x05,0x00,0x26,0xd6,0xfa,0x04,0x0e,0x04,0x01,0x0f,0x01,0xff]

v_cvt_pk_u8_f32_e64_dpp v5, v1, v2, v3 row_shr:1
// GFX11: v_cvt_pk_u8_f32_e64_dpp v5, v1, v2, v3 row_shr:1 row_mask:0xf bank_mask:0xf ; encoding: [0x05,0x00,0x26,0xd6,0xfa,0x04,0x0e,0x04,0x01,0x11,0x01,0xff]

v_cvt_pk_u8_f32_e64_dpp v5, v1, v2, v3 row_shr:15
// GFX11: v_cvt_pk_u8_f32_e64_dpp v5, v1, v2, v3 row_shr:15 row_mask:0xf bank_mask:0xf ; encoding: [0x05,0x00,0x26,0xd6,0xfa,0x04,0x0e,0x04,0x01,0x1f,0x01,0xff]

v_cvt_pk_u8_f32_e64_dpp v5, v1, v2, v3 row_xmask:0
// GFX11: v_cvt_pk_u8_f32_e64_dpp v5, v1, v2, v3 row_xmask:0 row_mask:0xf bank_mask:0xf ; encoding: [0x05,0x00,0x26,0xd6,0xfa,0x04,0x0e,0x04,0x01,0x60,0x01,0xff]

v_cvt_pk_u8_f32_e64_dpp v5, v1, v2, v3 row_xmask:15
// GFX11: v_cvt_pk_u8_f32_e64_dpp v5, v1, v2, v3 row_xmask:15 row_mask:0xf bank_mask:0xf ; encoding: [0x05,0x00,0x26,0xd6,0xfa,0x04,0x0e,0x04,0x01,0x6f,0x01,0xff]

v_cvt_pk_u8_f32_e64_dpp v5, v1, v2, v3 quad_perm:[3,2,1,0] fi:0
// GFX11: v_cvt_pk_u8_f32_e64_dpp v5, v1, v2, v3 quad_perm:[3,2,1,0] row_mask:0xf bank_mask:0xf ; encoding: [0x05,0x00,0x26,0xd6,0xfa,0x04,0x0e,0x04,0x01,0x1b,0x00,0xff]

v_cvt_pk_u8_f32_e64_dpp v5, v1, v2, v3 quad_perm:[3,2,1,0] fi:1
// GFX11: v_cvt_pk_u8_f32_e64_dpp v5, v1, v2, v3 quad_perm:[3,2,1,0] row_mask:0xf bank_mask:0xf fi:1 ; encoding: [0x05,0x00,0x26,0xd6,0xfa,0x04,0x0e,0x04,0x01,0x1b,0x04,0xff]

v_cvt_pk_u8_f32_e64_dpp v5, v1, v2, v3 quad_perm:[3,2,1,0] row_mask:0x0 bank_mask:0x1
// GFX11: v_cvt_pk_u8_f32_e64_dpp v5, v1, v2, v3 quad_perm:[3,2,1,0] row_mask:0x0 bank_mask:0x1 ; encoding: [0x05,0x00,0x26,0xd6,0xfa,0x04,0x0e,0x04,0x01,0x1b,0x00,0x01]

v_cvt_pk_u8_f32_e64_dpp v5, v1, v2, v3 quad_perm:[3,2,1,0] row_mask:0x3 bank_mask:0x0
// GFX11: v_cvt_pk_u8_f32_e64_dpp v5, v1, v2, v3 quad_perm:[3,2,1,0] row_mask:0x3 bank_mask:0x0 ; encoding: [0x05,0x00,0x26,0xd6,0xfa,0x04,0x0e,0x04,0x01,0x1b,0x00,0x30]
	;; [unrolled: 3-line block ×3, first 2 shown]

v_div_fixup_f16_e64_dpp v5.l, v1.l, v2.l, v3.l quad_perm:[3,2,1,0]
// GFX11: v_div_fixup_f16_e64_dpp v5.l, v1.l, v2.l, v3.l quad_perm:[3,2,1,0] row_mask:0xf bank_mask:0xf ; encoding: [0x05,0x00,0x54,0xd6,0xfa,0x04,0x0e,0x04,0x01,0x1b,0x00,0xff]

v_div_fixup_f16_e64_dpp v255.l, v255.l, v255.l, v255.l quad_perm:[3,2,1,0]
// GFX11: v_div_fixup_f16_e64_dpp v255.l, v255.l, v255.l, v255.l quad_perm:[3,2,1,0] row_mask:0xf bank_mask:0xf ; encoding: [0xff,0x00,0x54,0xd6,0xfa,0xfe,0xff,0x07,0xff,0x1b,0x00,0xff]

v_div_fixup_f16_e64_dpp v5.l, -v7.l, v2.l, v3.l quad_perm:[3,2,1,0]
// GFX11: v_div_fixup_f16_e64_dpp v5.l, -v7.l, v2.l, v3.l quad_perm:[3,2,1,0] row_mask:0xf bank_mask:0xf ; encoding: [0x05,0x00,0x54,0xd6,0xfa,0x04,0x0e,0x24,0x07,0x1b,0x00,0xff]

v_div_fixup_f16_e64_dpp v5.l, |v7.l|, v2.l, v3.l quad_perm:[3,2,1,0]
// GFX11: v_div_fixup_f16_e64_dpp v5.l, |v7.l|, v2.l, v3.l quad_perm:[3,2,1,0] row_mask:0xf bank_mask:0xf ; encoding: [0x05,0x01,0x54,0xd6,0xfa,0x04,0x0e,0x04,0x07,0x1b,0x00,0xff]

v_div_fixup_f16_e64_dpp v5.l, -|v7.l|, v2.l, v3.l quad_perm:[3,2,1,0]
// GFX11: v_div_fixup_f16_e64_dpp v5.l, -|v7.l|, v2.l, v3.l quad_perm:[3,2,1,0] row_mask:0xf bank_mask:0xf ; encoding: [0x05,0x01,0x54,0xd6,0xfa,0x04,0x0e,0x24,0x07,0x1b,0x00,0xff]

v_div_fixup_f16_e64_dpp v5.l, v1.l, -v7.l, v3.l quad_perm:[3,2,1,0]
// GFX11: v_div_fixup_f16_e64_dpp v5.l, v1.l, -v7.l, v3.l quad_perm:[3,2,1,0] row_mask:0xf bank_mask:0xf ; encoding: [0x05,0x00,0x54,0xd6,0xfa,0x0e,0x0e,0x44,0x01,0x1b,0x00,0xff]

v_div_fixup_f16_e64_dpp v5.l, v1.l, |v7.l|, v3.l quad_perm:[3,2,1,0]
// GFX11: v_div_fixup_f16_e64_dpp v5.l, v1.l, |v7.l|, v3.l quad_perm:[3,2,1,0] row_mask:0xf bank_mask:0xf ; encoding: [0x05,0x02,0x54,0xd6,0xfa,0x0e,0x0e,0x04,0x01,0x1b,0x00,0xff]

v_div_fixup_f16_e64_dpp v5.l, v1.l, -|v7.l|, v3.l quad_perm:[3,2,1,0]
// GFX11: v_div_fixup_f16_e64_dpp v5.l, v1.l, -|v7.l|, v3.l quad_perm:[3,2,1,0] row_mask:0xf bank_mask:0xf ; encoding: [0x05,0x02,0x54,0xd6,0xfa,0x0e,0x0e,0x44,0x01,0x1b,0x00,0xff]

v_div_fixup_f16_e64_dpp v5.l, v1.l, v2.l, -1 quad_perm:[3,2,1,0]
// GFX11: v_div_fixup_f16_e64_dpp v5.l, v1.l, v2.l, -1 quad_perm:[3,2,1,0] row_mask:0xf bank_mask:0xf ; encoding: [0x05,0x00,0x54,0xd6,0xfa,0x04,0x06,0x03,0x01,0x1b,0x00,0xff]

v_div_fixup_f16_e64_dpp v5.l, v1.l, v2.l, 0.5 quad_perm:[3,2,1,0]
// GFX11: v_div_fixup_f16_e64_dpp v5.l, v1.l, v2.l, 0.5 quad_perm:[3,2,1,0] row_mask:0xf bank_mask:0xf ; encoding: [0x05,0x00,0x54,0xd6,0xfa,0x04,0xc2,0x03,0x01,0x1b,0x00,0xff]

v_div_fixup_f16_e64_dpp v5.l, v1.l, v2.l, exec_hi quad_perm:[3,2,1,0]
// GFX11: v_div_fixup_f16_e64_dpp v5.l, v1.l, v2.l, exec_hi quad_perm:[3,2,1,0] row_mask:0xf bank_mask:0xf ; encoding: [0x05,0x00,0x54,0xd6,0xfa,0x04,0xfe,0x01,0x01,0x1b,0x00,0xff]

v_div_fixup_f16_e64_dpp v5.l, v1.l, v2.l, exec_lo quad_perm:[3,2,1,0]
// GFX11: v_div_fixup_f16_e64_dpp v5.l, v1.l, v2.l, exec_lo quad_perm:[3,2,1,0] row_mask:0xf bank_mask:0xf ; encoding: [0x05,0x00,0x54,0xd6,0xfa,0x04,0xfa,0x01,0x01,0x1b,0x00,0xff]

v_div_fixup_f16_e64_dpp v5.l, v1.l, v2.l, m0 quad_perm:[3,2,1,0]
// GFX11: v_div_fixup_f16_e64_dpp v5.l, v1.l, v2.l, m0 quad_perm:[3,2,1,0] row_mask:0xf bank_mask:0xf ; encoding: [0x05,0x00,0x54,0xd6,0xfa,0x04,0xf6,0x01,0x01,0x1b,0x00,0xff]

v_div_fixup_f16_e64_dpp v5.l, v1.l, v2.l, null quad_perm:[3,2,1,0]
// GFX11: v_div_fixup_f16_e64_dpp v5.l, v1.l, v2.l, null quad_perm:[3,2,1,0] row_mask:0xf bank_mask:0xf ; encoding: [0x05,0x00,0x54,0xd6,0xfa,0x04,0xf2,0x01,0x01,0x1b,0x00,0xff]

v_div_fixup_f16_e64_dpp v5.l, v1.l, v2.l, s105 quad_perm:[3,2,1,0]
// GFX11: v_div_fixup_f16_e64_dpp v5.l, v1.l, v2.l, s105 quad_perm:[3,2,1,0] row_mask:0xf bank_mask:0xf ; encoding: [0x05,0x00,0x54,0xd6,0xfa,0x04,0xa6,0x01,0x01,0x1b,0x00,0xff]

v_div_fixup_f16_e64_dpp v5.l, v1.l, v2.l, s3 quad_perm:[3,2,1,0]
// GFX11: v_div_fixup_f16_e64_dpp v5.l, v1.l, v2.l, s3 quad_perm:[3,2,1,0] row_mask:0xf bank_mask:0xf ; encoding: [0x05,0x00,0x54,0xd6,0xfa,0x04,0x0e,0x00,0x01,0x1b,0x00,0xff]

v_div_fixup_f16_e64_dpp v5.l, v1.l, v2.l, src_scc quad_perm:[3,2,1,0]
// GFX11: v_div_fixup_f16_e64_dpp v5.l, v1.l, v2.l, src_scc quad_perm:[3,2,1,0] row_mask:0xf bank_mask:0xf ; encoding: [0x05,0x00,0x54,0xd6,0xfa,0x04,0xf6,0x03,0x01,0x1b,0x00,0xff]

v_div_fixup_f16_e64_dpp v5.l, v1.l, v2.l, ttmp15 quad_perm:[3,2,1,0]
// GFX11: v_div_fixup_f16_e64_dpp v5.l, v1.l, v2.l, ttmp15 quad_perm:[3,2,1,0] row_mask:0xf bank_mask:0xf ; encoding: [0x05,0x00,0x54,0xd6,0xfa,0x04,0xee,0x01,0x01,0x1b,0x00,0xff]

v_div_fixup_f16_e64_dpp v5.l, v1.l, v2.l, v255.h quad_perm:[3,2,1,0]
// GFX11: v_div_fixup_f16_e64_dpp v5.l, v1.l, v2.l, v255.h op_sel:[0,0,1,0] quad_perm:[3,2,1,0] row_mask:0xf bank_mask:0xf ; encoding: [0x05,0x20,0x54,0xd6,0xfa,0x04,0xfe,0x07,0x01,0x1b,0x00,0xff]

v_div_fixup_f16_e64_dpp v5.l, v1.l, v2.l, v255.l quad_perm:[3,2,1,0]
// GFX11: v_div_fixup_f16_e64_dpp v5.l, v1.l, v2.l, v255.l quad_perm:[3,2,1,0] row_mask:0xf bank_mask:0xf ; encoding: [0x05,0x00,0x54,0xd6,0xfa,0x04,0xfe,0x07,0x01,0x1b,0x00,0xff]

v_div_fixup_f16_e64_dpp v5.l, v1.l, v2.l, v3.h quad_perm:[3,2,1,0]
// GFX11: v_div_fixup_f16_e64_dpp v5.l, v1.l, v2.l, v3.h op_sel:[0,0,1,0] quad_perm:[3,2,1,0] row_mask:0xf bank_mask:0xf ; encoding: [0x05,0x20,0x54,0xd6,0xfa,0x04,0x0e,0x04,0x01,0x1b,0x00,0xff]

v_div_fixup_f16_e64_dpp v5.l, v1.l, v2.l, vcc_hi quad_perm:[3,2,1,0]
// GFX11: v_div_fixup_f16_e64_dpp v5.l, v1.l, v2.l, vcc_hi quad_perm:[3,2,1,0] row_mask:0xf bank_mask:0xf ; encoding: [0x05,0x00,0x54,0xd6,0xfa,0x04,0xae,0x01,0x01,0x1b,0x00,0xff]

v_div_fixup_f16_e64_dpp v5.l, v1.l, v2.l, vcc_lo quad_perm:[3,2,1,0]
// GFX11: v_div_fixup_f16_e64_dpp v5.l, v1.l, v2.l, vcc_lo quad_perm:[3,2,1,0] row_mask:0xf bank_mask:0xf ; encoding: [0x05,0x00,0x54,0xd6,0xfa,0x04,0xaa,0x01,0x01,0x1b,0x00,0xff]

v_div_fixup_f16_e64_dpp v5.l, v1.l, v2.l, -|0.5| quad_perm:[3,2,1,0]
// GFX11: v_div_fixup_f16_e64_dpp v5.l, v1.l, v2.l, -|0.5| quad_perm:[3,2,1,0] row_mask:0xf bank_mask:0xf ; encoding: [0x05,0x04,0x54,0xd6,0xfa,0x04,0xc2,0x83,0x01,0x1b,0x00,0xff]

v_div_fixup_f16_e64_dpp v5.l, v1.h, v2.l, v3.l op_sel:[1,0,0,0] quad_perm:[3,2,1,0]
// GFX11: v_div_fixup_f16_e64_dpp v5.l, v1.h, v2.l, v3.l op_sel:[1,0,0,0] quad_perm:[3,2,1,0] row_mask:0xf bank_mask:0xf ; encoding: [0x05,0x08,0x54,0xd6,0xfa,0x04,0x0e,0x04,0x01,0x1b,0x00,0xff]

v_div_fixup_f16_e64_dpp v5.l, v1.l, v2.h, v3.l op_sel:[0,1,0,0] quad_perm:[3,2,1,0]
// GFX11: v_div_fixup_f16_e64_dpp v5.l, v1.l, v2.h, v3.l op_sel:[0,1,0,0] quad_perm:[3,2,1,0] row_mask:0xf bank_mask:0xf ; encoding: [0x05,0x10,0x54,0xd6,0xfa,0x04,0x0e,0x04,0x01,0x1b,0x00,0xff]

v_div_fixup_f16_e64_dpp v5.l, v1.l, v2.l, v3.h op_sel:[0,0,1,0] quad_perm:[3,2,1,0]
// GFX11: v_div_fixup_f16_e64_dpp v5.l, v1.l, v2.l, v3.h op_sel:[0,0,1,0] quad_perm:[3,2,1,0] row_mask:0xf bank_mask:0xf ; encoding: [0x05,0x20,0x54,0xd6,0xfa,0x04,0x0e,0x04,0x01,0x1b,0x00,0xff]

v_div_fixup_f16_e64_dpp v5.l, v1.l, v2.l, v3.l quad_perm:[3,2,1,0] bound_ctrl:0
// GFX11: v_div_fixup_f16_e64_dpp v5.l, v1.l, v2.l, v3.l quad_perm:[3,2,1,0] row_mask:0xf bank_mask:0xf ; encoding: [0x05,0x00,0x54,0xd6,0xfa,0x04,0x0e,0x04,0x01,0x1b,0x00,0xff]

v_div_fixup_f16_e64_dpp v5.l, v1.l, v2.l, v3.l quad_perm:[3,2,1,0] bound_ctrl:1
// GFX11: v_div_fixup_f16_e64_dpp v5.l, v1.l, v2.l, v3.l quad_perm:[3,2,1,0] row_mask:0xf bank_mask:0xf bound_ctrl:1 ; encoding: [0x05,0x00,0x54,0xd6,0xfa,0x04,0x0e,0x04,0x01,0x1b,0x08,0xff]

v_div_fixup_f16_e64_dpp v5.l, v1.l, v2.l, v3.l quad_perm:[0,1,2,3]
// GFX11: v_div_fixup_f16_e64_dpp v5.l, v1.l, v2.l, v3.l quad_perm:[0,1,2,3] row_mask:0xf bank_mask:0xf ; encoding: [0x05,0x00,0x54,0xd6,0xfa,0x04,0x0e,0x04,0x01,0xe4,0x00,0xff]

v_div_fixup_f16_e64_dpp v5.l, v1.l, v2.l, v3.l row_half_mirror
// GFX11: v_div_fixup_f16_e64_dpp v5.l, v1.l, v2.l, v3.l row_half_mirror row_mask:0xf bank_mask:0xf ; encoding: [0x05,0x00,0x54,0xd6,0xfa,0x04,0x0e,0x04,0x01,0x41,0x01,0xff]

v_div_fixup_f16_e64_dpp v5.l, v1.l, v2.l, v3.l row_mirror
// GFX11: v_div_fixup_f16_e64_dpp v5.l, v1.l, v2.l, v3.l row_mirror row_mask:0xf bank_mask:0xf ; encoding: [0x05,0x00,0x54,0xd6,0xfa,0x04,0x0e,0x04,0x01,0x40,0x01,0xff]

v_div_fixup_f16_e64_dpp v5.l, v1.l, v2.l, v3.l row_ror:1
// GFX11: v_div_fixup_f16_e64_dpp v5.l, v1.l, v2.l, v3.l row_ror:1 row_mask:0xf bank_mask:0xf ; encoding: [0x05,0x00,0x54,0xd6,0xfa,0x04,0x0e,0x04,0x01,0x21,0x01,0xff]

v_div_fixup_f16_e64_dpp v5.l, v1.l, v2.l, v3.l row_ror:15
// GFX11: v_div_fixup_f16_e64_dpp v5.l, v1.l, v2.l, v3.l row_ror:15 row_mask:0xf bank_mask:0xf ; encoding: [0x05,0x00,0x54,0xd6,0xfa,0x04,0x0e,0x04,0x01,0x2f,0x01,0xff]

v_div_fixup_f16_e64_dpp v5.l, v1.l, v2.l, v3.l row_share:0
// GFX11: v_div_fixup_f16_e64_dpp v5.l, v1.l, v2.l, v3.l row_share:0 row_mask:0xf bank_mask:0xf ; encoding: [0x05,0x00,0x54,0xd6,0xfa,0x04,0x0e,0x04,0x01,0x50,0x01,0xff]

v_div_fixup_f16_e64_dpp v5.l, v1.l, v2.l, v3.l row_share:15
// GFX11: v_div_fixup_f16_e64_dpp v5.l, v1.l, v2.l, v3.l row_share:15 row_mask:0xf bank_mask:0xf ; encoding: [0x05,0x00,0x54,0xd6,0xfa,0x04,0x0e,0x04,0x01,0x5f,0x01,0xff]

v_div_fixup_f16_e64_dpp v5.l, v1.l, v2.l, v3.l row_shl:1
// GFX11: v_div_fixup_f16_e64_dpp v5.l, v1.l, v2.l, v3.l row_shl:1 row_mask:0xf bank_mask:0xf ; encoding: [0x05,0x00,0x54,0xd6,0xfa,0x04,0x0e,0x04,0x01,0x01,0x01,0xff]

v_div_fixup_f16_e64_dpp v5.l, v1.l, v2.l, v3.l row_shl:15
// GFX11: v_div_fixup_f16_e64_dpp v5.l, v1.l, v2.l, v3.l row_shl:15 row_mask:0xf bank_mask:0xf ; encoding: [0x05,0x00,0x54,0xd6,0xfa,0x04,0x0e,0x04,0x01,0x0f,0x01,0xff]

v_div_fixup_f16_e64_dpp v5.l, v1.l, v2.l, v3.l row_shr:1
// GFX11: v_div_fixup_f16_e64_dpp v5.l, v1.l, v2.l, v3.l row_shr:1 row_mask:0xf bank_mask:0xf ; encoding: [0x05,0x00,0x54,0xd6,0xfa,0x04,0x0e,0x04,0x01,0x11,0x01,0xff]

v_div_fixup_f16_e64_dpp v5.l, v1.l, v2.l, v3.l row_shr:15
// GFX11: v_div_fixup_f16_e64_dpp v5.l, v1.l, v2.l, v3.l row_shr:15 row_mask:0xf bank_mask:0xf ; encoding: [0x05,0x00,0x54,0xd6,0xfa,0x04,0x0e,0x04,0x01,0x1f,0x01,0xff]

v_div_fixup_f16_e64_dpp v5.l, v1.l, v2.l, v3.l row_xmask:0
// GFX11: v_div_fixup_f16_e64_dpp v5.l, v1.l, v2.l, v3.l row_xmask:0 row_mask:0xf bank_mask:0xf ; encoding: [0x05,0x00,0x54,0xd6,0xfa,0x04,0x0e,0x04,0x01,0x60,0x01,0xff]

v_div_fixup_f16_e64_dpp v5.l, v1.l, v2.l, v3.l row_xmask:15
// GFX11: v_div_fixup_f16_e64_dpp v5.l, v1.l, v2.l, v3.l row_xmask:15 row_mask:0xf bank_mask:0xf ; encoding: [0x05,0x00,0x54,0xd6,0xfa,0x04,0x0e,0x04,0x01,0x6f,0x01,0xff]

v_div_fixup_f16_e64_dpp v5.l, v1.l, v2.l, v3.l quad_perm:[3,2,1,0] fi:0
// GFX11: v_div_fixup_f16_e64_dpp v5.l, v1.l, v2.l, v3.l quad_perm:[3,2,1,0] row_mask:0xf bank_mask:0xf ; encoding: [0x05,0x00,0x54,0xd6,0xfa,0x04,0x0e,0x04,0x01,0x1b,0x00,0xff]

v_div_fixup_f16_e64_dpp v5.l, v1.l, v2.l, v3.l quad_perm:[3,2,1,0] fi:1
// GFX11: v_div_fixup_f16_e64_dpp v5.l, v1.l, v2.l, v3.l quad_perm:[3,2,1,0] row_mask:0xf bank_mask:0xf fi:1 ; encoding: [0x05,0x00,0x54,0xd6,0xfa,0x04,0x0e,0x04,0x01,0x1b,0x04,0xff]

v_div_fixup_f16_e64_dpp v5.l, v1.l, v2.l, v3.l quad_perm:[3,2,1,0] row_mask:0x0 bank_mask:0x1
// GFX11: v_div_fixup_f16_e64_dpp v5.l, v1.l, v2.l, v3.l quad_perm:[3,2,1,0] row_mask:0x0 bank_mask:0x1 ; encoding: [0x05,0x00,0x54,0xd6,0xfa,0x04,0x0e,0x04,0x01,0x1b,0x00,0x01]

v_div_fixup_f16_e64_dpp v5.l, v1.l, v2.l, v3.l quad_perm:[3,2,1,0] row_mask:0x3 bank_mask:0x0
// GFX11: v_div_fixup_f16_e64_dpp v5.l, v1.l, v2.l, v3.l quad_perm:[3,2,1,0] row_mask:0x3 bank_mask:0x0 ; encoding: [0x05,0x00,0x54,0xd6,0xfa,0x04,0x0e,0x04,0x01,0x1b,0x00,0x30]
	;; [unrolled: 3-line block ×3, first 2 shown]

v_div_fixup_f16_e64_dpp v5.l, v1.l, v2.l, v3.l clamp quad_perm:[3,2,1,0]
// GFX11: v_div_fixup_f16_e64_dpp v5.l, v1.l, v2.l, v3.l clamp quad_perm:[3,2,1,0] row_mask:0xf bank_mask:0xf ; encoding: [0x05,0x80,0x54,0xd6,0xfa,0x04,0x0e,0x04,0x01,0x1b,0x00,0xff]

v_dot2_bf16_bf16_e64_dpp v0.l, v1, v2, v3.l quad_perm:[0,1,2,3]
// GFX11: v_dot2_bf16_bf16_e64_dpp v0.l, v1, v2, v3.l quad_perm:[0,1,2,3] row_mask:0xf bank_mask:0xf ; encoding: [0x00,0x00,0x67,0xd6,0xfa,0x04,0x0e,0x04,0x01,0xe4,0x00,0xff]

v_dot2_bf16_bf16_e64_dpp v255.l, v255, v255, v255.l quad_perm:[0,1,2,3]
// GFX11: v_dot2_bf16_bf16_e64_dpp v255.l, v255, v255, v255.l quad_perm:[0,1,2,3] row_mask:0xf bank_mask:0xf ; encoding: [0xff,0x00,0x67,0xd6,0xfa,0xfe,0xff,0x07,0xff,0xe4,0x00,0xff]

v_dot2_bf16_bf16_e64_dpp v0.l, -v7, v2, v3.l quad_perm:[0,1,2,3]
// GFX11: v_dot2_bf16_bf16_e64_dpp v0.l, -v7, v2, v3.l quad_perm:[0,1,2,3] row_mask:0xf bank_mask:0xf ; encoding: [0x00,0x00,0x67,0xd6,0xfa,0x04,0x0e,0x24,0x07,0xe4,0x00,0xff]

v_dot2_bf16_bf16_e64_dpp v0.l, |v7|, v2, v3.l quad_perm:[0,1,2,3]
// GFX11: v_dot2_bf16_bf16_e64_dpp v0.l, |v7|, v2, v3.l quad_perm:[0,1,2,3] row_mask:0xf bank_mask:0xf ; encoding: [0x00,0x01,0x67,0xd6,0xfa,0x04,0x0e,0x04,0x07,0xe4,0x00,0xff]

v_dot2_bf16_bf16_e64_dpp v0.l, -|v7|, v2, v3.l quad_perm:[0,1,2,3]
// GFX11: v_dot2_bf16_bf16_e64_dpp v0.l, -|v7|, v2, v3.l quad_perm:[0,1,2,3] row_mask:0xf bank_mask:0xf ; encoding: [0x00,0x01,0x67,0xd6,0xfa,0x04,0x0e,0x24,0x07,0xe4,0x00,0xff]

v_dot2_bf16_bf16_e64_dpp v0.l, v1, -v7, v3.l quad_perm:[0,1,2,3]
// GFX11: v_dot2_bf16_bf16_e64_dpp v0.l, v1, -v7, v3.l quad_perm:[0,1,2,3] row_mask:0xf bank_mask:0xf ; encoding: [0x00,0x00,0x67,0xd6,0xfa,0x0e,0x0e,0x44,0x01,0xe4,0x00,0xff]

v_dot2_bf16_bf16_e64_dpp v0.l, v1, |v7|, v3.l quad_perm:[0,1,2,3]
// GFX11: v_dot2_bf16_bf16_e64_dpp v0.l, v1, |v7|, v3.l quad_perm:[0,1,2,3] row_mask:0xf bank_mask:0xf ; encoding: [0x00,0x02,0x67,0xd6,0xfa,0x0e,0x0e,0x04,0x01,0xe4,0x00,0xff]

v_dot2_bf16_bf16_e64_dpp v0.l, v1, -|v7|, v3.l quad_perm:[0,1,2,3]
// GFX11: v_dot2_bf16_bf16_e64_dpp v0.l, v1, -|v7|, v3.l quad_perm:[0,1,2,3] row_mask:0xf bank_mask:0xf ; encoding: [0x00,0x02,0x67,0xd6,0xfa,0x0e,0x0e,0x44,0x01,0xe4,0x00,0xff]

v_dot2_bf16_bf16_e64_dpp v0.l, v1, v2, -1 quad_perm:[0,1,2,3]
// GFX11: v_dot2_bf16_bf16_e64_dpp v0.l, v1, v2, -1 quad_perm:[0,1,2,3] row_mask:0xf bank_mask:0xf ; encoding: [0x00,0x00,0x67,0xd6,0xfa,0x04,0x06,0x03,0x01,0xe4,0x00,0xff]

v_dot2_bf16_bf16_e64_dpp v0.l, v1, v2, 0.5 quad_perm:[0,1,2,3]
// GFX11: v_dot2_bf16_bf16_e64_dpp v0.l, v1, v2, 0.5 quad_perm:[0,1,2,3] row_mask:0xf bank_mask:0xf ; encoding: [0x00,0x00,0x67,0xd6,0xfa,0x04,0xc2,0x03,0x01,0xe4,0x00,0xff]

v_dot2_bf16_bf16_e64_dpp v0.l, v1, v2, exec_hi quad_perm:[0,1,2,3]
// GFX11: v_dot2_bf16_bf16_e64_dpp v0.l, v1, v2, exec_hi quad_perm:[0,1,2,3] row_mask:0xf bank_mask:0xf ; encoding: [0x00,0x00,0x67,0xd6,0xfa,0x04,0xfe,0x01,0x01,0xe4,0x00,0xff]

v_dot2_bf16_bf16_e64_dpp v0.l, v1, v2, exec_lo quad_perm:[0,1,2,3]
// GFX11: v_dot2_bf16_bf16_e64_dpp v0.l, v1, v2, exec_lo quad_perm:[0,1,2,3] row_mask:0xf bank_mask:0xf ; encoding: [0x00,0x00,0x67,0xd6,0xfa,0x04,0xfa,0x01,0x01,0xe4,0x00,0xff]

v_dot2_bf16_bf16_e64_dpp v0.l, v1, v2, m0 quad_perm:[0,1,2,3]
// GFX11: v_dot2_bf16_bf16_e64_dpp v0.l, v1, v2, m0 quad_perm:[0,1,2,3] row_mask:0xf bank_mask:0xf ; encoding: [0x00,0x00,0x67,0xd6,0xfa,0x04,0xf6,0x01,0x01,0xe4,0x00,0xff]

v_dot2_bf16_bf16_e64_dpp v0.l, v1, v2, null quad_perm:[0,1,2,3]
// GFX11: v_dot2_bf16_bf16_e64_dpp v0.l, v1, v2, null quad_perm:[0,1,2,3] row_mask:0xf bank_mask:0xf ; encoding: [0x00,0x00,0x67,0xd6,0xfa,0x04,0xf2,0x01,0x01,0xe4,0x00,0xff]

v_dot2_bf16_bf16_e64_dpp v0.l, v1, v2, s105 quad_perm:[0,1,2,3]
// GFX11: v_dot2_bf16_bf16_e64_dpp v0.l, v1, v2, s105 quad_perm:[0,1,2,3] row_mask:0xf bank_mask:0xf ; encoding: [0x00,0x00,0x67,0xd6,0xfa,0x04,0xa6,0x01,0x01,0xe4,0x00,0xff]

v_dot2_bf16_bf16_e64_dpp v0.l, v1, v2, s3 quad_perm:[0,1,2,3]
// GFX11: v_dot2_bf16_bf16_e64_dpp v0.l, v1, v2, s3 quad_perm:[0,1,2,3] row_mask:0xf bank_mask:0xf ; encoding: [0x00,0x00,0x67,0xd6,0xfa,0x04,0x0e,0x00,0x01,0xe4,0x00,0xff]

v_dot2_bf16_bf16_e64_dpp v0.l, v1, v2, src_scc quad_perm:[0,1,2,3]
// GFX11: v_dot2_bf16_bf16_e64_dpp v0.l, v1, v2, src_scc quad_perm:[0,1,2,3] row_mask:0xf bank_mask:0xf ; encoding: [0x00,0x00,0x67,0xd6,0xfa,0x04,0xf6,0x03,0x01,0xe4,0x00,0xff]

v_dot2_bf16_bf16_e64_dpp v0.l, v1, v2, ttmp15 quad_perm:[0,1,2,3]
// GFX11: v_dot2_bf16_bf16_e64_dpp v0.l, v1, v2, ttmp15 quad_perm:[0,1,2,3] row_mask:0xf bank_mask:0xf ; encoding: [0x00,0x00,0x67,0xd6,0xfa,0x04,0xee,0x01,0x01,0xe4,0x00,0xff]

v_dot2_bf16_bf16_e64_dpp v0.l, v1, v2, v255.h quad_perm:[0,1,2,3]
// GFX11: v_dot2_bf16_bf16_e64_dpp v0.l, v1, v2, v255.h op_sel:[0,0,1,0] quad_perm:[0,1,2,3] row_mask:0xf bank_mask:0xf ; encoding: [0x00,0x20,0x67,0xd6,0xfa,0x04,0xfe,0x07,0x01,0xe4,0x00,0xff]

v_dot2_bf16_bf16_e64_dpp v0.l, v1, v2, v255.l quad_perm:[0,1,2,3]
// GFX11: v_dot2_bf16_bf16_e64_dpp v0.l, v1, v2, v255.l quad_perm:[0,1,2,3] row_mask:0xf bank_mask:0xf ; encoding: [0x00,0x00,0x67,0xd6,0xfa,0x04,0xfe,0x07,0x01,0xe4,0x00,0xff]

v_dot2_bf16_bf16_e64_dpp v0.l, v1, v2, v3.h quad_perm:[0,1,2,3]
// GFX11: v_dot2_bf16_bf16_e64_dpp v0.l, v1, v2, v3.h op_sel:[0,0,1,0] quad_perm:[0,1,2,3] row_mask:0xf bank_mask:0xf ; encoding: [0x00,0x20,0x67,0xd6,0xfa,0x04,0x0e,0x04,0x01,0xe4,0x00,0xff]

v_dot2_bf16_bf16_e64_dpp v0.l, v1, v2, vcc_hi quad_perm:[0,1,2,3]
// GFX11: v_dot2_bf16_bf16_e64_dpp v0.l, v1, v2, vcc_hi quad_perm:[0,1,2,3] row_mask:0xf bank_mask:0xf ; encoding: [0x00,0x00,0x67,0xd6,0xfa,0x04,0xae,0x01,0x01,0xe4,0x00,0xff]

v_dot2_bf16_bf16_e64_dpp v0.l, v1, v2, vcc_lo quad_perm:[0,1,2,3]
// GFX11: v_dot2_bf16_bf16_e64_dpp v0.l, v1, v2, vcc_lo quad_perm:[0,1,2,3] row_mask:0xf bank_mask:0xf ; encoding: [0x00,0x00,0x67,0xd6,0xfa,0x04,0xaa,0x01,0x01,0xe4,0x00,0xff]

v_dot2_bf16_bf16_e64_dpp v0.l, v1, v2, -|0.5| quad_perm:[0,1,2,3]
// GFX11: v_dot2_bf16_bf16_e64_dpp v0.l, v1, v2, -|0.5| quad_perm:[0,1,2,3] row_mask:0xf bank_mask:0xf ; encoding: [0x00,0x04,0x67,0xd6,0xfa,0x04,0xc2,0x83,0x01,0xe4,0x00,0xff]

v_dot2_bf16_bf16_e64_dpp v0.l, v1, v2, v3.h op_sel:[0,0,1,0] quad_perm:[0,1,2,3]
// GFX11: v_dot2_bf16_bf16_e64_dpp v0.l, v1, v2, v3.h op_sel:[0,0,1,0] quad_perm:[0,1,2,3] row_mask:0xf bank_mask:0xf ; encoding: [0x00,0x20,0x67,0xd6,0xfa,0x04,0x0e,0x04,0x01,0xe4,0x00,0xff]

v_dot2_bf16_bf16_e64_dpp v0.l, v1, v2, v3.l quad_perm:[0,1,2,3] bound_ctrl:0
// GFX11: v_dot2_bf16_bf16_e64_dpp v0.l, v1, v2, v3.l quad_perm:[0,1,2,3] row_mask:0xf bank_mask:0xf ; encoding: [0x00,0x00,0x67,0xd6,0xfa,0x04,0x0e,0x04,0x01,0xe4,0x00,0xff]

v_dot2_bf16_bf16_e64_dpp v0.l, v1, v2, v3.l quad_perm:[0,1,2,3] bound_ctrl:1
// GFX11: v_dot2_bf16_bf16_e64_dpp v0.l, v1, v2, v3.l quad_perm:[0,1,2,3] row_mask:0xf bank_mask:0xf bound_ctrl:1 ; encoding: [0x00,0x00,0x67,0xd6,0xfa,0x04,0x0e,0x04,0x01,0xe4,0x08,0xff]

v_dot2_bf16_bf16_e64_dpp v0.l, v1, v2, v3.l quad_perm:[3,2,1,0]
// GFX11: v_dot2_bf16_bf16_e64_dpp v0.l, v1, v2, v3.l quad_perm:[3,2,1,0] row_mask:0xf bank_mask:0xf ; encoding: [0x00,0x00,0x67,0xd6,0xfa,0x04,0x0e,0x04,0x01,0x1b,0x00,0xff]

v_dot2_bf16_bf16_e64_dpp v0.l, v1, v2, v3.l row_half_mirror
// GFX11: v_dot2_bf16_bf16_e64_dpp v0.l, v1, v2, v3.l row_half_mirror row_mask:0xf bank_mask:0xf ; encoding: [0x00,0x00,0x67,0xd6,0xfa,0x04,0x0e,0x04,0x01,0x41,0x01,0xff]

v_dot2_bf16_bf16_e64_dpp v0.l, v1, v2, v3.l row_mirror
// GFX11: v_dot2_bf16_bf16_e64_dpp v0.l, v1, v2, v3.l row_mirror row_mask:0xf bank_mask:0xf ; encoding: [0x00,0x00,0x67,0xd6,0xfa,0x04,0x0e,0x04,0x01,0x40,0x01,0xff]

v_dot2_bf16_bf16_e64_dpp v0.l, v1, v2, v3.l row_ror:1
// GFX11: v_dot2_bf16_bf16_e64_dpp v0.l, v1, v2, v3.l row_ror:1 row_mask:0xf bank_mask:0xf ; encoding: [0x00,0x00,0x67,0xd6,0xfa,0x04,0x0e,0x04,0x01,0x21,0x01,0xff]

v_dot2_bf16_bf16_e64_dpp v0.l, v1, v2, v3.l row_ror:15
// GFX11: v_dot2_bf16_bf16_e64_dpp v0.l, v1, v2, v3.l row_ror:15 row_mask:0xf bank_mask:0xf ; encoding: [0x00,0x00,0x67,0xd6,0xfa,0x04,0x0e,0x04,0x01,0x2f,0x01,0xff]

v_dot2_bf16_bf16_e64_dpp v0.l, v1, v2, v3.l row_share:0
// GFX11: v_dot2_bf16_bf16_e64_dpp v0.l, v1, v2, v3.l row_share:0 row_mask:0xf bank_mask:0xf ; encoding: [0x00,0x00,0x67,0xd6,0xfa,0x04,0x0e,0x04,0x01,0x50,0x01,0xff]

v_dot2_bf16_bf16_e64_dpp v0.l, v1, v2, v3.l row_share:15
// GFX11: v_dot2_bf16_bf16_e64_dpp v0.l, v1, v2, v3.l row_share:15 row_mask:0xf bank_mask:0xf ; encoding: [0x00,0x00,0x67,0xd6,0xfa,0x04,0x0e,0x04,0x01,0x5f,0x01,0xff]

v_dot2_bf16_bf16_e64_dpp v0.l, v1, v2, v3.l row_shl:1
// GFX11: v_dot2_bf16_bf16_e64_dpp v0.l, v1, v2, v3.l row_shl:1 row_mask:0xf bank_mask:0xf ; encoding: [0x00,0x00,0x67,0xd6,0xfa,0x04,0x0e,0x04,0x01,0x01,0x01,0xff]

v_dot2_bf16_bf16_e64_dpp v0.l, v1, v2, v3.l row_shl:15
// GFX11: v_dot2_bf16_bf16_e64_dpp v0.l, v1, v2, v3.l row_shl:15 row_mask:0xf bank_mask:0xf ; encoding: [0x00,0x00,0x67,0xd6,0xfa,0x04,0x0e,0x04,0x01,0x0f,0x01,0xff]

v_dot2_bf16_bf16_e64_dpp v0.l, v1, v2, v3.l row_shr:1
// GFX11: v_dot2_bf16_bf16_e64_dpp v0.l, v1, v2, v3.l row_shr:1 row_mask:0xf bank_mask:0xf ; encoding: [0x00,0x00,0x67,0xd6,0xfa,0x04,0x0e,0x04,0x01,0x11,0x01,0xff]

v_dot2_bf16_bf16_e64_dpp v0.l, v1, v2, v3.l row_shr:15
// GFX11: v_dot2_bf16_bf16_e64_dpp v0.l, v1, v2, v3.l row_shr:15 row_mask:0xf bank_mask:0xf ; encoding: [0x00,0x00,0x67,0xd6,0xfa,0x04,0x0e,0x04,0x01,0x1f,0x01,0xff]

v_dot2_bf16_bf16_e64_dpp v0.l, v1, v2, v3.l row_xmask:0
// GFX11: v_dot2_bf16_bf16_e64_dpp v0.l, v1, v2, v3.l row_xmask:0 row_mask:0xf bank_mask:0xf ; encoding: [0x00,0x00,0x67,0xd6,0xfa,0x04,0x0e,0x04,0x01,0x60,0x01,0xff]

v_dot2_bf16_bf16_e64_dpp v0.l, v1, v2, v3.l row_xmask:15
// GFX11: v_dot2_bf16_bf16_e64_dpp v0.l, v1, v2, v3.l row_xmask:15 row_mask:0xf bank_mask:0xf ; encoding: [0x00,0x00,0x67,0xd6,0xfa,0x04,0x0e,0x04,0x01,0x6f,0x01,0xff]

v_dot2_bf16_bf16_e64_dpp v0.l, v1, v2, v3.l quad_perm:[0,1,2,3] fi:0
// GFX11: v_dot2_bf16_bf16_e64_dpp v0.l, v1, v2, v3.l quad_perm:[0,1,2,3] row_mask:0xf bank_mask:0xf ; encoding: [0x00,0x00,0x67,0xd6,0xfa,0x04,0x0e,0x04,0x01,0xe4,0x00,0xff]

v_dot2_bf16_bf16_e64_dpp v0.l, v1, v2, v3.l quad_perm:[0,1,2,3] fi:1
// GFX11: v_dot2_bf16_bf16_e64_dpp v0.l, v1, v2, v3.l quad_perm:[0,1,2,3] row_mask:0xf bank_mask:0xf fi:1 ; encoding: [0x00,0x00,0x67,0xd6,0xfa,0x04,0x0e,0x04,0x01,0xe4,0x04,0xff]

v_dot2_bf16_bf16_e64_dpp v0.l, v1, v2, v3.l quad_perm:[0,1,2,3] row_mask:0x0 bank_mask:0x1
// GFX11: v_dot2_bf16_bf16_e64_dpp v0.l, v1, v2, v3.l quad_perm:[0,1,2,3] row_mask:0x0 bank_mask:0x1 ; encoding: [0x00,0x00,0x67,0xd6,0xfa,0x04,0x0e,0x04,0x01,0xe4,0x00,0x01]

v_dot2_bf16_bf16_e64_dpp v0.l, v1, v2, v3.l quad_perm:[0,1,2,3] row_mask:0x3 bank_mask:0x0
// GFX11: v_dot2_bf16_bf16_e64_dpp v0.l, v1, v2, v3.l quad_perm:[0,1,2,3] row_mask:0x3 bank_mask:0x0 ; encoding: [0x00,0x00,0x67,0xd6,0xfa,0x04,0x0e,0x04,0x01,0xe4,0x00,0x30]
	;; [unrolled: 3-line block ×3, first 2 shown]

v_dot2_f16_f16_e64_dpp v0.l, v1, v2, v3.l quad_perm:[0,1,2,3]
// GFX11: v_dot2_f16_f16_e64_dpp v0.l, v1, v2, v3.l quad_perm:[0,1,2,3] row_mask:0xf bank_mask:0xf ; encoding: [0x00,0x00,0x66,0xd6,0xfa,0x04,0x0e,0x04,0x01,0xe4,0x00,0xff]

v_dot2_f16_f16_e64_dpp v255.l, v255, v255, v255.l quad_perm:[0,1,2,3]
// GFX11: v_dot2_f16_f16_e64_dpp v255.l, v255, v255, v255.l quad_perm:[0,1,2,3] row_mask:0xf bank_mask:0xf ; encoding: [0xff,0x00,0x66,0xd6,0xfa,0xfe,0xff,0x07,0xff,0xe4,0x00,0xff]

v_dot2_f16_f16_e64_dpp v0.l, -v7, v2, v3.l quad_perm:[0,1,2,3]
// GFX11: v_dot2_f16_f16_e64_dpp v0.l, -v7, v2, v3.l quad_perm:[0,1,2,3] row_mask:0xf bank_mask:0xf ; encoding: [0x00,0x00,0x66,0xd6,0xfa,0x04,0x0e,0x24,0x07,0xe4,0x00,0xff]

v_dot2_f16_f16_e64_dpp v0.l, |v7|, v2, v3.l quad_perm:[0,1,2,3]
// GFX11: v_dot2_f16_f16_e64_dpp v0.l, |v7|, v2, v3.l quad_perm:[0,1,2,3] row_mask:0xf bank_mask:0xf ; encoding: [0x00,0x01,0x66,0xd6,0xfa,0x04,0x0e,0x04,0x07,0xe4,0x00,0xff]

v_dot2_f16_f16_e64_dpp v0.l, -|v7|, v2, v3.l quad_perm:[0,1,2,3]
// GFX11: v_dot2_f16_f16_e64_dpp v0.l, -|v7|, v2, v3.l quad_perm:[0,1,2,3] row_mask:0xf bank_mask:0xf ; encoding: [0x00,0x01,0x66,0xd6,0xfa,0x04,0x0e,0x24,0x07,0xe4,0x00,0xff]

v_dot2_f16_f16_e64_dpp v0.l, v1, -v7, v3.l quad_perm:[0,1,2,3]
// GFX11: v_dot2_f16_f16_e64_dpp v0.l, v1, -v7, v3.l quad_perm:[0,1,2,3] row_mask:0xf bank_mask:0xf ; encoding: [0x00,0x00,0x66,0xd6,0xfa,0x0e,0x0e,0x44,0x01,0xe4,0x00,0xff]

v_dot2_f16_f16_e64_dpp v0.l, v1, |v7|, v3.l quad_perm:[0,1,2,3]
// GFX11: v_dot2_f16_f16_e64_dpp v0.l, v1, |v7|, v3.l quad_perm:[0,1,2,3] row_mask:0xf bank_mask:0xf ; encoding: [0x00,0x02,0x66,0xd6,0xfa,0x0e,0x0e,0x04,0x01,0xe4,0x00,0xff]

v_dot2_f16_f16_e64_dpp v0.l, v1, -|v7|, v3.l quad_perm:[0,1,2,3]
// GFX11: v_dot2_f16_f16_e64_dpp v0.l, v1, -|v7|, v3.l quad_perm:[0,1,2,3] row_mask:0xf bank_mask:0xf ; encoding: [0x00,0x02,0x66,0xd6,0xfa,0x0e,0x0e,0x44,0x01,0xe4,0x00,0xff]

v_dot2_f16_f16_e64_dpp v0.l, v1, v2, -1 quad_perm:[0,1,2,3]
// GFX11: v_dot2_f16_f16_e64_dpp v0.l, v1, v2, -1 quad_perm:[0,1,2,3] row_mask:0xf bank_mask:0xf ; encoding: [0x00,0x00,0x66,0xd6,0xfa,0x04,0x06,0x03,0x01,0xe4,0x00,0xff]

v_dot2_f16_f16_e64_dpp v0.l, v1, v2, 0.5 quad_perm:[0,1,2,3]
// GFX11: v_dot2_f16_f16_e64_dpp v0.l, v1, v2, 0.5 quad_perm:[0,1,2,3] row_mask:0xf bank_mask:0xf ; encoding: [0x00,0x00,0x66,0xd6,0xfa,0x04,0xc2,0x03,0x01,0xe4,0x00,0xff]

v_dot2_f16_f16_e64_dpp v0.l, v1, v2, exec_hi quad_perm:[0,1,2,3]
// GFX11: v_dot2_f16_f16_e64_dpp v0.l, v1, v2, exec_hi quad_perm:[0,1,2,3] row_mask:0xf bank_mask:0xf ; encoding: [0x00,0x00,0x66,0xd6,0xfa,0x04,0xfe,0x01,0x01,0xe4,0x00,0xff]

v_dot2_f16_f16_e64_dpp v0.l, v1, v2, exec_lo quad_perm:[0,1,2,3]
// GFX11: v_dot2_f16_f16_e64_dpp v0.l, v1, v2, exec_lo quad_perm:[0,1,2,3] row_mask:0xf bank_mask:0xf ; encoding: [0x00,0x00,0x66,0xd6,0xfa,0x04,0xfa,0x01,0x01,0xe4,0x00,0xff]

v_dot2_f16_f16_e64_dpp v0.l, v1, v2, m0 quad_perm:[0,1,2,3]
// GFX11: v_dot2_f16_f16_e64_dpp v0.l, v1, v2, m0 quad_perm:[0,1,2,3] row_mask:0xf bank_mask:0xf ; encoding: [0x00,0x00,0x66,0xd6,0xfa,0x04,0xf6,0x01,0x01,0xe4,0x00,0xff]

v_dot2_f16_f16_e64_dpp v0.l, v1, v2, null quad_perm:[0,1,2,3]
// GFX11: v_dot2_f16_f16_e64_dpp v0.l, v1, v2, null quad_perm:[0,1,2,3] row_mask:0xf bank_mask:0xf ; encoding: [0x00,0x00,0x66,0xd6,0xfa,0x04,0xf2,0x01,0x01,0xe4,0x00,0xff]

v_dot2_f16_f16_e64_dpp v0.l, v1, v2, s105 quad_perm:[0,1,2,3]
// GFX11: v_dot2_f16_f16_e64_dpp v0.l, v1, v2, s105 quad_perm:[0,1,2,3] row_mask:0xf bank_mask:0xf ; encoding: [0x00,0x00,0x66,0xd6,0xfa,0x04,0xa6,0x01,0x01,0xe4,0x00,0xff]

v_dot2_f16_f16_e64_dpp v0.l, v1, v2, s3 quad_perm:[0,1,2,3]
// GFX11: v_dot2_f16_f16_e64_dpp v0.l, v1, v2, s3 quad_perm:[0,1,2,3] row_mask:0xf bank_mask:0xf ; encoding: [0x00,0x00,0x66,0xd6,0xfa,0x04,0x0e,0x00,0x01,0xe4,0x00,0xff]

v_dot2_f16_f16_e64_dpp v0.l, v1, v2, src_scc quad_perm:[0,1,2,3]
// GFX11: v_dot2_f16_f16_e64_dpp v0.l, v1, v2, src_scc quad_perm:[0,1,2,3] row_mask:0xf bank_mask:0xf ; encoding: [0x00,0x00,0x66,0xd6,0xfa,0x04,0xf6,0x03,0x01,0xe4,0x00,0xff]

v_dot2_f16_f16_e64_dpp v0.l, v1, v2, ttmp15 quad_perm:[0,1,2,3]
// GFX11: v_dot2_f16_f16_e64_dpp v0.l, v1, v2, ttmp15 quad_perm:[0,1,2,3] row_mask:0xf bank_mask:0xf ; encoding: [0x00,0x00,0x66,0xd6,0xfa,0x04,0xee,0x01,0x01,0xe4,0x00,0xff]

v_dot2_f16_f16_e64_dpp v0.l, v1, v2, v255.h quad_perm:[0,1,2,3]
// GFX11: v_dot2_f16_f16_e64_dpp v0.l, v1, v2, v255.h op_sel:[0,0,1,0] quad_perm:[0,1,2,3] row_mask:0xf bank_mask:0xf ; encoding: [0x00,0x20,0x66,0xd6,0xfa,0x04,0xfe,0x07,0x01,0xe4,0x00,0xff]

v_dot2_f16_f16_e64_dpp v0.l, v1, v2, v255.l quad_perm:[0,1,2,3]
// GFX11: v_dot2_f16_f16_e64_dpp v0.l, v1, v2, v255.l quad_perm:[0,1,2,3] row_mask:0xf bank_mask:0xf ; encoding: [0x00,0x00,0x66,0xd6,0xfa,0x04,0xfe,0x07,0x01,0xe4,0x00,0xff]

v_dot2_f16_f16_e64_dpp v0.l, v1, v2, v3.h quad_perm:[0,1,2,3]
// GFX11: v_dot2_f16_f16_e64_dpp v0.l, v1, v2, v3.h op_sel:[0,0,1,0] quad_perm:[0,1,2,3] row_mask:0xf bank_mask:0xf ; encoding: [0x00,0x20,0x66,0xd6,0xfa,0x04,0x0e,0x04,0x01,0xe4,0x00,0xff]

v_dot2_f16_f16_e64_dpp v0.l, v1, v2, vcc_hi quad_perm:[0,1,2,3]
// GFX11: v_dot2_f16_f16_e64_dpp v0.l, v1, v2, vcc_hi quad_perm:[0,1,2,3] row_mask:0xf bank_mask:0xf ; encoding: [0x00,0x00,0x66,0xd6,0xfa,0x04,0xae,0x01,0x01,0xe4,0x00,0xff]

v_dot2_f16_f16_e64_dpp v0.l, v1, v2, vcc_lo quad_perm:[0,1,2,3]
// GFX11: v_dot2_f16_f16_e64_dpp v0.l, v1, v2, vcc_lo quad_perm:[0,1,2,3] row_mask:0xf bank_mask:0xf ; encoding: [0x00,0x00,0x66,0xd6,0xfa,0x04,0xaa,0x01,0x01,0xe4,0x00,0xff]

v_dot2_f16_f16_e64_dpp v0.l, v1, v2, -|0.5| quad_perm:[0,1,2,3]
// GFX11: v_dot2_f16_f16_e64_dpp v0.l, v1, v2, -|0.5| quad_perm:[0,1,2,3] row_mask:0xf bank_mask:0xf ; encoding: [0x00,0x04,0x66,0xd6,0xfa,0x04,0xc2,0x83,0x01,0xe4,0x00,0xff]

v_dot2_f16_f16_e64_dpp v0.l, v1, v2, v3.h op_sel:[0,0,1,0] quad_perm:[0,1,2,3]
// GFX11: v_dot2_f16_f16_e64_dpp v0.l, v1, v2, v3.h op_sel:[0,0,1,0] quad_perm:[0,1,2,3] row_mask:0xf bank_mask:0xf ; encoding: [0x00,0x20,0x66,0xd6,0xfa,0x04,0x0e,0x04,0x01,0xe4,0x00,0xff]

v_dot2_f16_f16_e64_dpp v0.l, v1, v2, v3.l quad_perm:[0,1,2,3] bound_ctrl:0
// GFX11: v_dot2_f16_f16_e64_dpp v0.l, v1, v2, v3.l quad_perm:[0,1,2,3] row_mask:0xf bank_mask:0xf ; encoding: [0x00,0x00,0x66,0xd6,0xfa,0x04,0x0e,0x04,0x01,0xe4,0x00,0xff]

v_dot2_f16_f16_e64_dpp v0.l, v1, v2, v3.l quad_perm:[0,1,2,3] bound_ctrl:1
// GFX11: v_dot2_f16_f16_e64_dpp v0.l, v1, v2, v3.l quad_perm:[0,1,2,3] row_mask:0xf bank_mask:0xf bound_ctrl:1 ; encoding: [0x00,0x00,0x66,0xd6,0xfa,0x04,0x0e,0x04,0x01,0xe4,0x08,0xff]

v_dot2_f16_f16_e64_dpp v0.l, v1, v2, v3.l quad_perm:[3,2,1,0]
// GFX11: v_dot2_f16_f16_e64_dpp v0.l, v1, v2, v3.l quad_perm:[3,2,1,0] row_mask:0xf bank_mask:0xf ; encoding: [0x00,0x00,0x66,0xd6,0xfa,0x04,0x0e,0x04,0x01,0x1b,0x00,0xff]

v_dot2_f16_f16_e64_dpp v0.l, v1, v2, v3.l row_half_mirror
// GFX11: v_dot2_f16_f16_e64_dpp v0.l, v1, v2, v3.l row_half_mirror row_mask:0xf bank_mask:0xf ; encoding: [0x00,0x00,0x66,0xd6,0xfa,0x04,0x0e,0x04,0x01,0x41,0x01,0xff]

v_dot2_f16_f16_e64_dpp v0.l, v1, v2, v3.l row_mirror
// GFX11: v_dot2_f16_f16_e64_dpp v0.l, v1, v2, v3.l row_mirror row_mask:0xf bank_mask:0xf ; encoding: [0x00,0x00,0x66,0xd6,0xfa,0x04,0x0e,0x04,0x01,0x40,0x01,0xff]

v_dot2_f16_f16_e64_dpp v0.l, v1, v2, v3.l row_ror:1
// GFX11: v_dot2_f16_f16_e64_dpp v0.l, v1, v2, v3.l row_ror:1 row_mask:0xf bank_mask:0xf ; encoding: [0x00,0x00,0x66,0xd6,0xfa,0x04,0x0e,0x04,0x01,0x21,0x01,0xff]

v_dot2_f16_f16_e64_dpp v0.l, v1, v2, v3.l row_ror:15
// GFX11: v_dot2_f16_f16_e64_dpp v0.l, v1, v2, v3.l row_ror:15 row_mask:0xf bank_mask:0xf ; encoding: [0x00,0x00,0x66,0xd6,0xfa,0x04,0x0e,0x04,0x01,0x2f,0x01,0xff]

v_dot2_f16_f16_e64_dpp v0.l, v1, v2, v3.l row_share:0
// GFX11: v_dot2_f16_f16_e64_dpp v0.l, v1, v2, v3.l row_share:0 row_mask:0xf bank_mask:0xf ; encoding: [0x00,0x00,0x66,0xd6,0xfa,0x04,0x0e,0x04,0x01,0x50,0x01,0xff]

v_dot2_f16_f16_e64_dpp v0.l, v1, v2, v3.l row_share:15
// GFX11: v_dot2_f16_f16_e64_dpp v0.l, v1, v2, v3.l row_share:15 row_mask:0xf bank_mask:0xf ; encoding: [0x00,0x00,0x66,0xd6,0xfa,0x04,0x0e,0x04,0x01,0x5f,0x01,0xff]

v_dot2_f16_f16_e64_dpp v0.l, v1, v2, v3.l row_shl:1
// GFX11: v_dot2_f16_f16_e64_dpp v0.l, v1, v2, v3.l row_shl:1 row_mask:0xf bank_mask:0xf ; encoding: [0x00,0x00,0x66,0xd6,0xfa,0x04,0x0e,0x04,0x01,0x01,0x01,0xff]

v_dot2_f16_f16_e64_dpp v0.l, v1, v2, v3.l row_shl:15
// GFX11: v_dot2_f16_f16_e64_dpp v0.l, v1, v2, v3.l row_shl:15 row_mask:0xf bank_mask:0xf ; encoding: [0x00,0x00,0x66,0xd6,0xfa,0x04,0x0e,0x04,0x01,0x0f,0x01,0xff]

v_dot2_f16_f16_e64_dpp v0.l, v1, v2, v3.l row_shr:1
// GFX11: v_dot2_f16_f16_e64_dpp v0.l, v1, v2, v3.l row_shr:1 row_mask:0xf bank_mask:0xf ; encoding: [0x00,0x00,0x66,0xd6,0xfa,0x04,0x0e,0x04,0x01,0x11,0x01,0xff]

v_dot2_f16_f16_e64_dpp v0.l, v1, v2, v3.l row_shr:15
// GFX11: v_dot2_f16_f16_e64_dpp v0.l, v1, v2, v3.l row_shr:15 row_mask:0xf bank_mask:0xf ; encoding: [0x00,0x00,0x66,0xd6,0xfa,0x04,0x0e,0x04,0x01,0x1f,0x01,0xff]

v_dot2_f16_f16_e64_dpp v0.l, v1, v2, v3.l row_xmask:0
// GFX11: v_dot2_f16_f16_e64_dpp v0.l, v1, v2, v3.l row_xmask:0 row_mask:0xf bank_mask:0xf ; encoding: [0x00,0x00,0x66,0xd6,0xfa,0x04,0x0e,0x04,0x01,0x60,0x01,0xff]

v_dot2_f16_f16_e64_dpp v0.l, v1, v2, v3.l row_xmask:15
// GFX11: v_dot2_f16_f16_e64_dpp v0.l, v1, v2, v3.l row_xmask:15 row_mask:0xf bank_mask:0xf ; encoding: [0x00,0x00,0x66,0xd6,0xfa,0x04,0x0e,0x04,0x01,0x6f,0x01,0xff]

v_dot2_f16_f16_e64_dpp v0.l, v1, v2, v3.l quad_perm:[0,1,2,3] fi:0
// GFX11: v_dot2_f16_f16_e64_dpp v0.l, v1, v2, v3.l quad_perm:[0,1,2,3] row_mask:0xf bank_mask:0xf ; encoding: [0x00,0x00,0x66,0xd6,0xfa,0x04,0x0e,0x04,0x01,0xe4,0x00,0xff]

v_dot2_f16_f16_e64_dpp v0.l, v1, v2, v3.l quad_perm:[0,1,2,3] fi:1
// GFX11: v_dot2_f16_f16_e64_dpp v0.l, v1, v2, v3.l quad_perm:[0,1,2,3] row_mask:0xf bank_mask:0xf fi:1 ; encoding: [0x00,0x00,0x66,0xd6,0xfa,0x04,0x0e,0x04,0x01,0xe4,0x04,0xff]

v_dot2_f16_f16_e64_dpp v0.l, v1, v2, v3.l quad_perm:[0,1,2,3] row_mask:0x0 bank_mask:0x1
// GFX11: v_dot2_f16_f16_e64_dpp v0.l, v1, v2, v3.l quad_perm:[0,1,2,3] row_mask:0x0 bank_mask:0x1 ; encoding: [0x00,0x00,0x66,0xd6,0xfa,0x04,0x0e,0x04,0x01,0xe4,0x00,0x01]

v_dot2_f16_f16_e64_dpp v0.l, v1, v2, v3.l quad_perm:[0,1,2,3] row_mask:0x3 bank_mask:0x0
// GFX11: v_dot2_f16_f16_e64_dpp v0.l, v1, v2, v3.l quad_perm:[0,1,2,3] row_mask:0x3 bank_mask:0x0 ; encoding: [0x00,0x00,0x66,0xd6,0xfa,0x04,0x0e,0x04,0x01,0xe4,0x00,0x30]
	;; [unrolled: 3-line block ×3, first 2 shown]

v_dot2_f32_bf16_e64_dpp v0, v1, v2, v3 quad_perm:[0,1,2,3] row_mask:0xf bank_mask:0xf
// GFX11: v_dot2_f32_bf16_e64_dpp v0, v1, v2, v3 quad_perm:[0,1,2,3] row_mask:0xf bank_mask:0xf ; encoding: [0x00,0x40,0x1a,0xcc,0xfa,0x04,0x0e,0x1c,0x01,0xe4,0x00,0xff]

v_dot2_f32_bf16_e64_dpp v0, v1, v2, v3 quad_perm:[3,2,1,0] row_mask:0xf bank_mask:0xf
// GFX11: v_dot2_f32_bf16_e64_dpp v0, v1, v2, v3 quad_perm:[3,2,1,0] row_mask:0xf bank_mask:0xf ; encoding: [0x00,0x40,0x1a,0xcc,0xfa,0x04,0x0e,0x1c,0x01,0x1b,0x00,0xff]

v_dot2_f32_bf16_e64_dpp v0, v1, v2, v3 row_half_mirror row_mask:0xf bank_mask:0xf
// GFX11: v_dot2_f32_bf16_e64_dpp v0, v1, v2, v3 row_half_mirror row_mask:0xf bank_mask:0xf ; encoding: [0x00,0x40,0x1a,0xcc,0xfa,0x04,0x0e,0x1c,0x01,0x41,0x01,0xff]

v_dot2_f32_bf16_e64_dpp v0, v1, v2, v3 row_mirror row_mask:0xf bank_mask:0xf
// GFX11: v_dot2_f32_bf16_e64_dpp v0, v1, v2, v3 row_mirror row_mask:0xf bank_mask:0xf ; encoding: [0x00,0x40,0x1a,0xcc,0xfa,0x04,0x0e,0x1c,0x01,0x40,0x01,0xff]

v_dot2_f32_bf16_e64_dpp v0, v1, v2, v3 row_ror:1 row_mask:0xf bank_mask:0xf
// GFX11: v_dot2_f32_bf16_e64_dpp v0, v1, v2, v3 row_ror:1 row_mask:0xf bank_mask:0xf ; encoding: [0x00,0x40,0x1a,0xcc,0xfa,0x04,0x0e,0x1c,0x01,0x21,0x01,0xff]

v_dot2_f32_bf16_e64_dpp v0, v1, v2, v3 row_ror:15 row_mask:0xf bank_mask:0xf
// GFX11: v_dot2_f32_bf16_e64_dpp v0, v1, v2, v3 row_ror:15 row_mask:0xf bank_mask:0xf ; encoding: [0x00,0x40,0x1a,0xcc,0xfa,0x04,0x0e,0x1c,0x01,0x2f,0x01,0xff]

v_dot2_f32_bf16_e64_dpp v0, v1, v2, v3 row_share:0 row_mask:0xf bank_mask:0xf
// GFX11: v_dot2_f32_bf16_e64_dpp v0, v1, v2, v3 row_share:0 row_mask:0xf bank_mask:0xf ; encoding: [0x00,0x40,0x1a,0xcc,0xfa,0x04,0x0e,0x1c,0x01,0x50,0x01,0xff]

v_dot2_f32_bf16_e64_dpp v0, v1, v2, v3 row_share:15 row_mask:0xf bank_mask:0xf
// GFX11: v_dot2_f32_bf16_e64_dpp v0, v1, v2, v3 row_share:15 row_mask:0xf bank_mask:0xf ; encoding: [0x00,0x40,0x1a,0xcc,0xfa,0x04,0x0e,0x1c,0x01,0x5f,0x01,0xff]

v_dot2_f32_bf16_e64_dpp v0, v1, v2, v3 row_shl:1 row_mask:0xf bank_mask:0xf
// GFX11: v_dot2_f32_bf16_e64_dpp v0, v1, v2, v3 row_shl:1 row_mask:0xf bank_mask:0xf ; encoding: [0x00,0x40,0x1a,0xcc,0xfa,0x04,0x0e,0x1c,0x01,0x01,0x01,0xff]

v_dot2_f32_bf16_e64_dpp v0, v1, v2, v3 row_shl:15 row_mask:0xf bank_mask:0xf
// GFX11: v_dot2_f32_bf16_e64_dpp v0, v1, v2, v3 row_shl:15 row_mask:0xf bank_mask:0xf ; encoding: [0x00,0x40,0x1a,0xcc,0xfa,0x04,0x0e,0x1c,0x01,0x0f,0x01,0xff]

v_dot2_f32_bf16_e64_dpp v0, v1, v2, v3 row_shr:1 row_mask:0xf bank_mask:0xf
// GFX11: v_dot2_f32_bf16_e64_dpp v0, v1, v2, v3 row_shr:1 row_mask:0xf bank_mask:0xf ; encoding: [0x00,0x40,0x1a,0xcc,0xfa,0x04,0x0e,0x1c,0x01,0x11,0x01,0xff]

v_dot2_f32_bf16_e64_dpp v0, v1, v2, v3 row_shr:15 row_mask:0xf bank_mask:0xf
// GFX11: v_dot2_f32_bf16_e64_dpp v0, v1, v2, v3 row_shr:15 row_mask:0xf bank_mask:0xf ; encoding: [0x00,0x40,0x1a,0xcc,0xfa,0x04,0x0e,0x1c,0x01,0x1f,0x01,0xff]

v_dot2_f32_bf16_e64_dpp v0, v1, v2, v3 row_xmask:0 row_mask:0xf bank_mask:0xf
// GFX11: v_dot2_f32_bf16_e64_dpp v0, v1, v2, v3 row_xmask:0 row_mask:0xf bank_mask:0xf ; encoding: [0x00,0x40,0x1a,0xcc,0xfa,0x04,0x0e,0x1c,0x01,0x60,0x01,0xff]

v_dot2_f32_bf16_e64_dpp v0, v1, v2, v3 row_xmask:15 row_mask:0xf bank_mask:0xf
// GFX11: v_dot2_f32_bf16_e64_dpp v0, v1, v2, v3 row_xmask:15 row_mask:0xf bank_mask:0xf ; encoding: [0x00,0x40,0x1a,0xcc,0xfa,0x04,0x0e,0x1c,0x01,0x6f,0x01,0xff]

v_dot2_f32_bf16_e64_dpp v0, v1, v2, v3 quad_perm:[2,2,3,1] row_mask:0x0 bank_mask:0x1
// GFX11: v_dot2_f32_bf16_e64_dpp v0, v1, v2, v3 quad_perm:[2,2,3,1] row_mask:0x0 bank_mask:0x1 ; encoding: [0x00,0x40,0x1a,0xcc,0xfa,0x04,0x0e,0x1c,0x01,0x7a,0x00,0x01]

v_dot2_f32_bf16_e64_dpp v0, v1, v2, v3 quad_perm:[2,2,3,1] row_mask:0x3 bank_mask:0x0
// GFX11: v_dot2_f32_bf16_e64_dpp v0, v1, v2, v3 quad_perm:[2,2,3,1] row_mask:0x3 bank_mask:0x0 ; encoding: [0x00,0x40,0x1a,0xcc,0xfa,0x04,0x0e,0x1c,0x01,0x7a,0x00,0x30]
	;; [unrolled: 3-line block ×3, first 2 shown]

v_fma_f16_e64_dpp v5.l, v1.l, v2.l, v3.l quad_perm:[3,2,1,0]
// GFX11: v_fma_f16_e64_dpp v5.l, v1.l, v2.l, v3.l quad_perm:[3,2,1,0] row_mask:0xf bank_mask:0xf ; encoding: [0x05,0x00,0x48,0xd6,0xfa,0x04,0x0e,0x04,0x01,0x1b,0x00,0xff]

v_fma_f16_e64_dpp v255.l, v255.l, v255.l, v255.l quad_perm:[3,2,1,0]
// GFX11: v_fma_f16_e64_dpp v255.l, v255.l, v255.l, v255.l quad_perm:[3,2,1,0] row_mask:0xf bank_mask:0xf ; encoding: [0xff,0x00,0x48,0xd6,0xfa,0xfe,0xff,0x07,0xff,0x1b,0x00,0xff]

v_fma_f16_e64_dpp v5.l, -v7.l, v2.l, v3.l quad_perm:[3,2,1,0]
// GFX11: v_fma_f16_e64_dpp v5.l, -v7.l, v2.l, v3.l quad_perm:[3,2,1,0] row_mask:0xf bank_mask:0xf ; encoding: [0x05,0x00,0x48,0xd6,0xfa,0x04,0x0e,0x24,0x07,0x1b,0x00,0xff]

v_fma_f16_e64_dpp v5.l, |v7.l|, v2.l, v3.l quad_perm:[3,2,1,0]
// GFX11: v_fma_f16_e64_dpp v5.l, |v7.l|, v2.l, v3.l quad_perm:[3,2,1,0] row_mask:0xf bank_mask:0xf ; encoding: [0x05,0x01,0x48,0xd6,0xfa,0x04,0x0e,0x04,0x07,0x1b,0x00,0xff]

v_fma_f16_e64_dpp v5.l, -|v7.l|, v2.l, v3.l quad_perm:[3,2,1,0]
// GFX11: v_fma_f16_e64_dpp v5.l, -|v7.l|, v2.l, v3.l quad_perm:[3,2,1,0] row_mask:0xf bank_mask:0xf ; encoding: [0x05,0x01,0x48,0xd6,0xfa,0x04,0x0e,0x24,0x07,0x1b,0x00,0xff]

v_fma_f16_e64_dpp v5.l, v1.l, -v7.l, v3.l quad_perm:[3,2,1,0]
// GFX11: v_fma_f16_e64_dpp v5.l, v1.l, -v7.l, v3.l quad_perm:[3,2,1,0] row_mask:0xf bank_mask:0xf ; encoding: [0x05,0x00,0x48,0xd6,0xfa,0x0e,0x0e,0x44,0x01,0x1b,0x00,0xff]

v_fma_f16_e64_dpp v5.l, v1.l, |v7.l|, v3.l quad_perm:[3,2,1,0]
// GFX11: v_fma_f16_e64_dpp v5.l, v1.l, |v7.l|, v3.l quad_perm:[3,2,1,0] row_mask:0xf bank_mask:0xf ; encoding: [0x05,0x02,0x48,0xd6,0xfa,0x0e,0x0e,0x04,0x01,0x1b,0x00,0xff]

v_fma_f16_e64_dpp v5.l, v1.l, -|v7.l|, v3.l quad_perm:[3,2,1,0]
// GFX11: v_fma_f16_e64_dpp v5.l, v1.l, -|v7.l|, v3.l quad_perm:[3,2,1,0] row_mask:0xf bank_mask:0xf ; encoding: [0x05,0x02,0x48,0xd6,0xfa,0x0e,0x0e,0x44,0x01,0x1b,0x00,0xff]

v_fma_f16_e64_dpp v5.l, v1.l, v2.l, -1 quad_perm:[3,2,1,0]
// GFX11: v_fma_f16_e64_dpp v5.l, v1.l, v2.l, -1 quad_perm:[3,2,1,0] row_mask:0xf bank_mask:0xf ; encoding: [0x05,0x00,0x48,0xd6,0xfa,0x04,0x06,0x03,0x01,0x1b,0x00,0xff]

v_fma_f16_e64_dpp v5.l, v1.l, v2.l, 0.5 quad_perm:[3,2,1,0]
// GFX11: v_fma_f16_e64_dpp v5.l, v1.l, v2.l, 0.5 quad_perm:[3,2,1,0] row_mask:0xf bank_mask:0xf ; encoding: [0x05,0x00,0x48,0xd6,0xfa,0x04,0xc2,0x03,0x01,0x1b,0x00,0xff]

v_fma_f16_e64_dpp v5.l, v1.l, v2.l, exec_hi quad_perm:[3,2,1,0]
// GFX11: v_fma_f16_e64_dpp v5.l, v1.l, v2.l, exec_hi quad_perm:[3,2,1,0] row_mask:0xf bank_mask:0xf ; encoding: [0x05,0x00,0x48,0xd6,0xfa,0x04,0xfe,0x01,0x01,0x1b,0x00,0xff]

v_fma_f16_e64_dpp v5.l, v1.l, v2.l, exec_lo quad_perm:[3,2,1,0]
// GFX11: v_fma_f16_e64_dpp v5.l, v1.l, v2.l, exec_lo quad_perm:[3,2,1,0] row_mask:0xf bank_mask:0xf ; encoding: [0x05,0x00,0x48,0xd6,0xfa,0x04,0xfa,0x01,0x01,0x1b,0x00,0xff]

v_fma_f16_e64_dpp v5.l, v1.l, v2.l, m0 quad_perm:[3,2,1,0]
// GFX11: v_fma_f16_e64_dpp v5.l, v1.l, v2.l, m0 quad_perm:[3,2,1,0] row_mask:0xf bank_mask:0xf ; encoding: [0x05,0x00,0x48,0xd6,0xfa,0x04,0xf6,0x01,0x01,0x1b,0x00,0xff]

v_fma_f16_e64_dpp v5.l, v1.l, v2.l, null quad_perm:[3,2,1,0]
// GFX11: v_fma_f16_e64_dpp v5.l, v1.l, v2.l, null quad_perm:[3,2,1,0] row_mask:0xf bank_mask:0xf ; encoding: [0x05,0x00,0x48,0xd6,0xfa,0x04,0xf2,0x01,0x01,0x1b,0x00,0xff]

v_fma_f16_e64_dpp v5.l, v1.l, v2.l, s105 quad_perm:[3,2,1,0]
// GFX11: v_fma_f16_e64_dpp v5.l, v1.l, v2.l, s105 quad_perm:[3,2,1,0] row_mask:0xf bank_mask:0xf ; encoding: [0x05,0x00,0x48,0xd6,0xfa,0x04,0xa6,0x01,0x01,0x1b,0x00,0xff]

v_fma_f16_e64_dpp v5.l, v1.l, v2.l, s3 quad_perm:[3,2,1,0]
// GFX11: v_fma_f16_e64_dpp v5.l, v1.l, v2.l, s3 quad_perm:[3,2,1,0] row_mask:0xf bank_mask:0xf ; encoding: [0x05,0x00,0x48,0xd6,0xfa,0x04,0x0e,0x00,0x01,0x1b,0x00,0xff]

v_fma_f16_e64_dpp v5.l, v1.l, v2.l, src_scc quad_perm:[3,2,1,0]
// GFX11: v_fma_f16_e64_dpp v5.l, v1.l, v2.l, src_scc quad_perm:[3,2,1,0] row_mask:0xf bank_mask:0xf ; encoding: [0x05,0x00,0x48,0xd6,0xfa,0x04,0xf6,0x03,0x01,0x1b,0x00,0xff]

v_fma_f16_e64_dpp v5.l, v1.l, v2.l, ttmp15 quad_perm:[3,2,1,0]
// GFX11: v_fma_f16_e64_dpp v5.l, v1.l, v2.l, ttmp15 quad_perm:[3,2,1,0] row_mask:0xf bank_mask:0xf ; encoding: [0x05,0x00,0x48,0xd6,0xfa,0x04,0xee,0x01,0x01,0x1b,0x00,0xff]

v_fma_f16_e64_dpp v5.l, v1.l, v2.l, v255.h quad_perm:[3,2,1,0]
// GFX11: v_fma_f16_e64_dpp v5.l, v1.l, v2.l, v255.h op_sel:[0,0,1,0] quad_perm:[3,2,1,0] row_mask:0xf bank_mask:0xf ; encoding: [0x05,0x20,0x48,0xd6,0xfa,0x04,0xfe,0x07,0x01,0x1b,0x00,0xff]

v_fma_f16_e64_dpp v5.l, v1.l, v2.l, v255.l quad_perm:[3,2,1,0]
// GFX11: v_fma_f16_e64_dpp v5.l, v1.l, v2.l, v255.l quad_perm:[3,2,1,0] row_mask:0xf bank_mask:0xf ; encoding: [0x05,0x00,0x48,0xd6,0xfa,0x04,0xfe,0x07,0x01,0x1b,0x00,0xff]

v_fma_f16_e64_dpp v5.l, v1.l, v2.l, v3.h quad_perm:[3,2,1,0]
// GFX11: v_fma_f16_e64_dpp v5.l, v1.l, v2.l, v3.h op_sel:[0,0,1,0] quad_perm:[3,2,1,0] row_mask:0xf bank_mask:0xf ; encoding: [0x05,0x20,0x48,0xd6,0xfa,0x04,0x0e,0x04,0x01,0x1b,0x00,0xff]

v_fma_f16_e64_dpp v5.l, v1.l, v2.l, vcc_hi quad_perm:[3,2,1,0]
// GFX11: v_fma_f16_e64_dpp v5.l, v1.l, v2.l, vcc_hi quad_perm:[3,2,1,0] row_mask:0xf bank_mask:0xf ; encoding: [0x05,0x00,0x48,0xd6,0xfa,0x04,0xae,0x01,0x01,0x1b,0x00,0xff]

v_fma_f16_e64_dpp v5.l, v1.l, v2.l, vcc_lo quad_perm:[3,2,1,0]
// GFX11: v_fma_f16_e64_dpp v5.l, v1.l, v2.l, vcc_lo quad_perm:[3,2,1,0] row_mask:0xf bank_mask:0xf ; encoding: [0x05,0x00,0x48,0xd6,0xfa,0x04,0xaa,0x01,0x01,0x1b,0x00,0xff]

v_fma_f16_e64_dpp v5.l, v1.l, v2.l, -|0.5| quad_perm:[3,2,1,0]
// GFX11: v_fma_f16_e64_dpp v5.l, v1.l, v2.l, -|0.5| quad_perm:[3,2,1,0] row_mask:0xf bank_mask:0xf ; encoding: [0x05,0x04,0x48,0xd6,0xfa,0x04,0xc2,0x83,0x01,0x1b,0x00,0xff]

v_fma_f16_e64_dpp v5.l, v1.h, v2.l, v3.l op_sel:[1,0,0,0] quad_perm:[3,2,1,0]
// GFX11: v_fma_f16_e64_dpp v5.l, v1.h, v2.l, v3.l op_sel:[1,0,0,0] quad_perm:[3,2,1,0] row_mask:0xf bank_mask:0xf ; encoding: [0x05,0x08,0x48,0xd6,0xfa,0x04,0x0e,0x04,0x01,0x1b,0x00,0xff]

v_fma_f16_e64_dpp v5.l, v1.l, v2.h, v3.l op_sel:[0,1,0,0] quad_perm:[3,2,1,0]
// GFX11: v_fma_f16_e64_dpp v5.l, v1.l, v2.h, v3.l op_sel:[0,1,0,0] quad_perm:[3,2,1,0] row_mask:0xf bank_mask:0xf ; encoding: [0x05,0x10,0x48,0xd6,0xfa,0x04,0x0e,0x04,0x01,0x1b,0x00,0xff]

v_fma_f16_e64_dpp v5.l, v1.l, v2.l, v3.h op_sel:[0,0,1,0] quad_perm:[3,2,1,0]
// GFX11: v_fma_f16_e64_dpp v5.l, v1.l, v2.l, v3.h op_sel:[0,0,1,0] quad_perm:[3,2,1,0] row_mask:0xf bank_mask:0xf ; encoding: [0x05,0x20,0x48,0xd6,0xfa,0x04,0x0e,0x04,0x01,0x1b,0x00,0xff]

v_fma_f16_e64_dpp v5.l, v1.l, v2.l, v3.l quad_perm:[3,2,1,0] bound_ctrl:0
// GFX11: v_fma_f16_e64_dpp v5.l, v1.l, v2.l, v3.l quad_perm:[3,2,1,0] row_mask:0xf bank_mask:0xf ; encoding: [0x05,0x00,0x48,0xd6,0xfa,0x04,0x0e,0x04,0x01,0x1b,0x00,0xff]

v_fma_f16_e64_dpp v5.l, v1.l, v2.l, v3.l quad_perm:[3,2,1,0] bound_ctrl:1
// GFX11: v_fma_f16_e64_dpp v5.l, v1.l, v2.l, v3.l quad_perm:[3,2,1,0] row_mask:0xf bank_mask:0xf bound_ctrl:1 ; encoding: [0x05,0x00,0x48,0xd6,0xfa,0x04,0x0e,0x04,0x01,0x1b,0x08,0xff]

v_fma_f16_e64_dpp v5.l, v1.l, v2.l, v3.l quad_perm:[0,1,2,3]
// GFX11: v_fma_f16_e64_dpp v5.l, v1.l, v2.l, v3.l quad_perm:[0,1,2,3] row_mask:0xf bank_mask:0xf ; encoding: [0x05,0x00,0x48,0xd6,0xfa,0x04,0x0e,0x04,0x01,0xe4,0x00,0xff]

v_fma_f16_e64_dpp v5.l, v1.l, v2.l, v3.l row_half_mirror
// GFX11: v_fma_f16_e64_dpp v5.l, v1.l, v2.l, v3.l row_half_mirror row_mask:0xf bank_mask:0xf ; encoding: [0x05,0x00,0x48,0xd6,0xfa,0x04,0x0e,0x04,0x01,0x41,0x01,0xff]

v_fma_f16_e64_dpp v5.l, v1.l, v2.l, v3.l row_mirror
// GFX11: v_fma_f16_e64_dpp v5.l, v1.l, v2.l, v3.l row_mirror row_mask:0xf bank_mask:0xf ; encoding: [0x05,0x00,0x48,0xd6,0xfa,0x04,0x0e,0x04,0x01,0x40,0x01,0xff]

v_fma_f16_e64_dpp v5.l, v1.l, v2.l, v3.l row_ror:1
// GFX11: v_fma_f16_e64_dpp v5.l, v1.l, v2.l, v3.l row_ror:1 row_mask:0xf bank_mask:0xf ; encoding: [0x05,0x00,0x48,0xd6,0xfa,0x04,0x0e,0x04,0x01,0x21,0x01,0xff]

v_fma_f16_e64_dpp v5.l, v1.l, v2.l, v3.l row_ror:15
// GFX11: v_fma_f16_e64_dpp v5.l, v1.l, v2.l, v3.l row_ror:15 row_mask:0xf bank_mask:0xf ; encoding: [0x05,0x00,0x48,0xd6,0xfa,0x04,0x0e,0x04,0x01,0x2f,0x01,0xff]

v_fma_f16_e64_dpp v5.l, v1.l, v2.l, v3.l row_share:0
// GFX11: v_fma_f16_e64_dpp v5.l, v1.l, v2.l, v3.l row_share:0 row_mask:0xf bank_mask:0xf ; encoding: [0x05,0x00,0x48,0xd6,0xfa,0x04,0x0e,0x04,0x01,0x50,0x01,0xff]

v_fma_f16_e64_dpp v5.l, v1.l, v2.l, v3.l row_share:15
// GFX11: v_fma_f16_e64_dpp v5.l, v1.l, v2.l, v3.l row_share:15 row_mask:0xf bank_mask:0xf ; encoding: [0x05,0x00,0x48,0xd6,0xfa,0x04,0x0e,0x04,0x01,0x5f,0x01,0xff]

v_fma_f16_e64_dpp v5.l, v1.l, v2.l, v3.l row_shl:1
// GFX11: v_fma_f16_e64_dpp v5.l, v1.l, v2.l, v3.l row_shl:1 row_mask:0xf bank_mask:0xf ; encoding: [0x05,0x00,0x48,0xd6,0xfa,0x04,0x0e,0x04,0x01,0x01,0x01,0xff]

v_fma_f16_e64_dpp v5.l, v1.l, v2.l, v3.l row_shl:15
// GFX11: v_fma_f16_e64_dpp v5.l, v1.l, v2.l, v3.l row_shl:15 row_mask:0xf bank_mask:0xf ; encoding: [0x05,0x00,0x48,0xd6,0xfa,0x04,0x0e,0x04,0x01,0x0f,0x01,0xff]

v_fma_f16_e64_dpp v5.l, v1.l, v2.l, v3.l row_shr:1
// GFX11: v_fma_f16_e64_dpp v5.l, v1.l, v2.l, v3.l row_shr:1 row_mask:0xf bank_mask:0xf ; encoding: [0x05,0x00,0x48,0xd6,0xfa,0x04,0x0e,0x04,0x01,0x11,0x01,0xff]

v_fma_f16_e64_dpp v5.l, v1.l, v2.l, v3.l row_shr:15
// GFX11: v_fma_f16_e64_dpp v5.l, v1.l, v2.l, v3.l row_shr:15 row_mask:0xf bank_mask:0xf ; encoding: [0x05,0x00,0x48,0xd6,0xfa,0x04,0x0e,0x04,0x01,0x1f,0x01,0xff]

v_fma_f16_e64_dpp v5.l, v1.l, v2.l, v3.l row_xmask:0
// GFX11: v_fma_f16_e64_dpp v5.l, v1.l, v2.l, v3.l row_xmask:0 row_mask:0xf bank_mask:0xf ; encoding: [0x05,0x00,0x48,0xd6,0xfa,0x04,0x0e,0x04,0x01,0x60,0x01,0xff]

v_fma_f16_e64_dpp v5.l, v1.l, v2.l, v3.l row_xmask:15
// GFX11: v_fma_f16_e64_dpp v5.l, v1.l, v2.l, v3.l row_xmask:15 row_mask:0xf bank_mask:0xf ; encoding: [0x05,0x00,0x48,0xd6,0xfa,0x04,0x0e,0x04,0x01,0x6f,0x01,0xff]

v_fma_f16_e64_dpp v5.l, v1.l, v2.l, v3.l quad_perm:[3,2,1,0] fi:0
// GFX11: v_fma_f16_e64_dpp v5.l, v1.l, v2.l, v3.l quad_perm:[3,2,1,0] row_mask:0xf bank_mask:0xf ; encoding: [0x05,0x00,0x48,0xd6,0xfa,0x04,0x0e,0x04,0x01,0x1b,0x00,0xff]

v_fma_f16_e64_dpp v5.l, v1.l, v2.l, v3.l quad_perm:[3,2,1,0] fi:1
// GFX11: v_fma_f16_e64_dpp v5.l, v1.l, v2.l, v3.l quad_perm:[3,2,1,0] row_mask:0xf bank_mask:0xf fi:1 ; encoding: [0x05,0x00,0x48,0xd6,0xfa,0x04,0x0e,0x04,0x01,0x1b,0x04,0xff]

v_fma_f16_e64_dpp v5.l, v1.l, v2.l, v3.l quad_perm:[3,2,1,0] row_mask:0x0 bank_mask:0x1
// GFX11: v_fma_f16_e64_dpp v5.l, v1.l, v2.l, v3.l quad_perm:[3,2,1,0] row_mask:0x0 bank_mask:0x1 ; encoding: [0x05,0x00,0x48,0xd6,0xfa,0x04,0x0e,0x04,0x01,0x1b,0x00,0x01]

v_fma_f16_e64_dpp v5.l, v1.l, v2.l, v3.l quad_perm:[3,2,1,0] row_mask:0x3 bank_mask:0x0
// GFX11: v_fma_f16_e64_dpp v5.l, v1.l, v2.l, v3.l quad_perm:[3,2,1,0] row_mask:0x3 bank_mask:0x0 ; encoding: [0x05,0x00,0x48,0xd6,0xfa,0x04,0x0e,0x04,0x01,0x1b,0x00,0x30]

v_fma_f16_e64_dpp v5.l, v1.l, v2.l, v3.l quad_perm:[3,2,1,0] row_mask:0xf bank_mask:0xf
// GFX11: v_fma_f16_e64_dpp v5.l, v1.l, v2.l, v3.l quad_perm:[3,2,1,0] row_mask:0xf bank_mask:0xf ; encoding: [0x05,0x00,0x48,0xd6,0xfa,0x04,0x0e,0x04,0x01,0x1b,0x00,0xff]

v_fma_f16_e64_dpp v5.l, v1.l, v2.l, v3.l clamp quad_perm:[3,2,1,0]
// GFX11: v_fma_f16_e64_dpp v5.l, v1.l, v2.l, v3.l clamp quad_perm:[3,2,1,0] row_mask:0xf bank_mask:0xf ; encoding: [0x05,0x80,0x48,0xd6,0xfa,0x04,0x0e,0x04,0x01,0x1b,0x00,0xff]

v_fma_f32_e64_dpp v5, v1, v2, v3 quad_perm:[3,2,1,0]
// GFX11: v_fma_f32_e64_dpp v5, v1, v2, v3 quad_perm:[3,2,1,0] row_mask:0xf bank_mask:0xf ; encoding: [0x05,0x00,0x13,0xd6,0xfa,0x04,0x0e,0x04,0x01,0x1b,0x00,0xff]

v_fma_f32_e64_dpp v255, v255, v255, v255 quad_perm:[3,2,1,0]
// GFX11: v_fma_f32_e64_dpp v255, v255, v255, v255 quad_perm:[3,2,1,0] row_mask:0xf bank_mask:0xf ; encoding: [0xff,0x00,0x13,0xd6,0xfa,0xfe,0xff,0x07,0xff,0x1b,0x00,0xff]

v_fma_f32_e64_dpp v5, -v7, v2, v3 quad_perm:[3,2,1,0]
// GFX11: v_fma_f32_e64_dpp v5, -v7, v2, v3 quad_perm:[3,2,1,0] row_mask:0xf bank_mask:0xf ; encoding: [0x05,0x00,0x13,0xd6,0xfa,0x04,0x0e,0x24,0x07,0x1b,0x00,0xff]

v_fma_f32_e64_dpp v5, |v7|, v2, v3 quad_perm:[3,2,1,0]
// GFX11: v_fma_f32_e64_dpp v5, |v7|, v2, v3 quad_perm:[3,2,1,0] row_mask:0xf bank_mask:0xf ; encoding: [0x05,0x01,0x13,0xd6,0xfa,0x04,0x0e,0x04,0x07,0x1b,0x00,0xff]

v_fma_f32_e64_dpp v5, -|v7|, v2, v3 quad_perm:[3,2,1,0]
// GFX11: v_fma_f32_e64_dpp v5, -|v7|, v2, v3 quad_perm:[3,2,1,0] row_mask:0xf bank_mask:0xf ; encoding: [0x05,0x01,0x13,0xd6,0xfa,0x04,0x0e,0x24,0x07,0x1b,0x00,0xff]

v_fma_f32_e64_dpp v5, v1, -v7, v3 quad_perm:[3,2,1,0]
// GFX11: v_fma_f32_e64_dpp v5, v1, -v7, v3 quad_perm:[3,2,1,0] row_mask:0xf bank_mask:0xf ; encoding: [0x05,0x00,0x13,0xd6,0xfa,0x0e,0x0e,0x44,0x01,0x1b,0x00,0xff]

v_fma_f32_e64_dpp v5, v1, |v7|, v3 quad_perm:[3,2,1,0]
// GFX11: v_fma_f32_e64_dpp v5, v1, |v7|, v3 quad_perm:[3,2,1,0] row_mask:0xf bank_mask:0xf ; encoding: [0x05,0x02,0x13,0xd6,0xfa,0x0e,0x0e,0x04,0x01,0x1b,0x00,0xff]

v_fma_f32_e64_dpp v5, v1, -|v7|, v3 quad_perm:[3,2,1,0]
// GFX11: v_fma_f32_e64_dpp v5, v1, -|v7|, v3 quad_perm:[3,2,1,0] row_mask:0xf bank_mask:0xf ; encoding: [0x05,0x02,0x13,0xd6,0xfa,0x0e,0x0e,0x44,0x01,0x1b,0x00,0xff]

v_fma_f32_e64_dpp v5, v1, v2, -1 quad_perm:[3,2,1,0]
// GFX11: v_fma_f32_e64_dpp v5, v1, v2, -1 quad_perm:[3,2,1,0] row_mask:0xf bank_mask:0xf ; encoding: [0x05,0x00,0x13,0xd6,0xfa,0x04,0x06,0x03,0x01,0x1b,0x00,0xff]

v_fma_f32_e64_dpp v5, v1, v2, 0.5 quad_perm:[3,2,1,0]
// GFX11: v_fma_f32_e64_dpp v5, v1, v2, 0.5 quad_perm:[3,2,1,0] row_mask:0xf bank_mask:0xf ; encoding: [0x05,0x00,0x13,0xd6,0xfa,0x04,0xc2,0x03,0x01,0x1b,0x00,0xff]

v_fma_f32_e64_dpp v5, v1, v2, exec_hi quad_perm:[3,2,1,0]
// GFX11: v_fma_f32_e64_dpp v5, v1, v2, exec_hi quad_perm:[3,2,1,0] row_mask:0xf bank_mask:0xf ; encoding: [0x05,0x00,0x13,0xd6,0xfa,0x04,0xfe,0x01,0x01,0x1b,0x00,0xff]

v_fma_f32_e64_dpp v5, v1, v2, exec_lo quad_perm:[3,2,1,0]
// GFX11: v_fma_f32_e64_dpp v5, v1, v2, exec_lo quad_perm:[3,2,1,0] row_mask:0xf bank_mask:0xf ; encoding: [0x05,0x00,0x13,0xd6,0xfa,0x04,0xfa,0x01,0x01,0x1b,0x00,0xff]

v_fma_f32_e64_dpp v5, v1, v2, m0 quad_perm:[3,2,1,0]
// GFX11: v_fma_f32_e64_dpp v5, v1, v2, m0 quad_perm:[3,2,1,0] row_mask:0xf bank_mask:0xf ; encoding: [0x05,0x00,0x13,0xd6,0xfa,0x04,0xf6,0x01,0x01,0x1b,0x00,0xff]

v_fma_f32_e64_dpp v5, v1, v2, null quad_perm:[3,2,1,0]
// GFX11: v_fma_f32_e64_dpp v5, v1, v2, null quad_perm:[3,2,1,0] row_mask:0xf bank_mask:0xf ; encoding: [0x05,0x00,0x13,0xd6,0xfa,0x04,0xf2,0x01,0x01,0x1b,0x00,0xff]

v_fma_f32_e64_dpp v5, v1, v2, s105 quad_perm:[3,2,1,0]
// GFX11: v_fma_f32_e64_dpp v5, v1, v2, s105 quad_perm:[3,2,1,0] row_mask:0xf bank_mask:0xf ; encoding: [0x05,0x00,0x13,0xd6,0xfa,0x04,0xa6,0x01,0x01,0x1b,0x00,0xff]

v_fma_f32_e64_dpp v5, v1, v2, s3 quad_perm:[3,2,1,0]
// GFX11: v_fma_f32_e64_dpp v5, v1, v2, s3 quad_perm:[3,2,1,0] row_mask:0xf bank_mask:0xf ; encoding: [0x05,0x00,0x13,0xd6,0xfa,0x04,0x0e,0x00,0x01,0x1b,0x00,0xff]

v_fma_f32_e64_dpp v5, v1, v2, src_scc quad_perm:[3,2,1,0]
// GFX11: v_fma_f32_e64_dpp v5, v1, v2, src_scc quad_perm:[3,2,1,0] row_mask:0xf bank_mask:0xf ; encoding: [0x05,0x00,0x13,0xd6,0xfa,0x04,0xf6,0x03,0x01,0x1b,0x00,0xff]

v_fma_f32_e64_dpp v5, v1, v2, ttmp15 quad_perm:[3,2,1,0]
// GFX11: v_fma_f32_e64_dpp v5, v1, v2, ttmp15 quad_perm:[3,2,1,0] row_mask:0xf bank_mask:0xf ; encoding: [0x05,0x00,0x13,0xd6,0xfa,0x04,0xee,0x01,0x01,0x1b,0x00,0xff]

v_fma_f32_e64_dpp v5, v1, v2, v255 quad_perm:[3,2,1,0]
// GFX11: v_fma_f32_e64_dpp v5, v1, v2, v255 quad_perm:[3,2,1,0] row_mask:0xf bank_mask:0xf ; encoding: [0x05,0x00,0x13,0xd6,0xfa,0x04,0xfe,0x07,0x01,0x1b,0x00,0xff]

v_fma_f32_e64_dpp v5, v1, v2, vcc_hi quad_perm:[3,2,1,0]
// GFX11: v_fma_f32_e64_dpp v5, v1, v2, vcc_hi quad_perm:[3,2,1,0] row_mask:0xf bank_mask:0xf ; encoding: [0x05,0x00,0x13,0xd6,0xfa,0x04,0xae,0x01,0x01,0x1b,0x00,0xff]

v_fma_f32_e64_dpp v5, v1, v2, vcc_lo quad_perm:[3,2,1,0]
// GFX11: v_fma_f32_e64_dpp v5, v1, v2, vcc_lo quad_perm:[3,2,1,0] row_mask:0xf bank_mask:0xf ; encoding: [0x05,0x00,0x13,0xd6,0xfa,0x04,0xaa,0x01,0x01,0x1b,0x00,0xff]

v_fma_f32_e64_dpp v5, v1, v2, -|0.5| quad_perm:[3,2,1,0]
// GFX11: v_fma_f32_e64_dpp v5, v1, v2, -|0.5| quad_perm:[3,2,1,0] row_mask:0xf bank_mask:0xf ; encoding: [0x05,0x04,0x13,0xd6,0xfa,0x04,0xc2,0x83,0x01,0x1b,0x00,0xff]

v_fma_f32_e64_dpp v5, v1, v2, v3 quad_perm:[3,2,1,0] bound_ctrl:0
// GFX11: v_fma_f32_e64_dpp v5, v1, v2, v3 quad_perm:[3,2,1,0] row_mask:0xf bank_mask:0xf ; encoding: [0x05,0x00,0x13,0xd6,0xfa,0x04,0x0e,0x04,0x01,0x1b,0x00,0xff]

v_fma_f32_e64_dpp v5, v1, v2, v3 quad_perm:[3,2,1,0] bound_ctrl:1
// GFX11: v_fma_f32_e64_dpp v5, v1, v2, v3 quad_perm:[3,2,1,0] row_mask:0xf bank_mask:0xf bound_ctrl:1 ; encoding: [0x05,0x00,0x13,0xd6,0xfa,0x04,0x0e,0x04,0x01,0x1b,0x08,0xff]

v_fma_f32_e64_dpp v5, v1, v2, v3 quad_perm:[0,1,2,3]
// GFX11: v_fma_f32_e64_dpp v5, v1, v2, v3 quad_perm:[0,1,2,3] row_mask:0xf bank_mask:0xf ; encoding: [0x05,0x00,0x13,0xd6,0xfa,0x04,0x0e,0x04,0x01,0xe4,0x00,0xff]

v_fma_f32_e64_dpp v5, v1, v2, v3 row_half_mirror
// GFX11: v_fma_f32_e64_dpp v5, v1, v2, v3 row_half_mirror row_mask:0xf bank_mask:0xf ; encoding: [0x05,0x00,0x13,0xd6,0xfa,0x04,0x0e,0x04,0x01,0x41,0x01,0xff]

v_fma_f32_e64_dpp v5, v1, v2, v3 row_mirror
// GFX11: v_fma_f32_e64_dpp v5, v1, v2, v3 row_mirror row_mask:0xf bank_mask:0xf ; encoding: [0x05,0x00,0x13,0xd6,0xfa,0x04,0x0e,0x04,0x01,0x40,0x01,0xff]

v_fma_f32_e64_dpp v5, v1, v2, v3 row_ror:1
// GFX11: v_fma_f32_e64_dpp v5, v1, v2, v3 row_ror:1 row_mask:0xf bank_mask:0xf ; encoding: [0x05,0x00,0x13,0xd6,0xfa,0x04,0x0e,0x04,0x01,0x21,0x01,0xff]

v_fma_f32_e64_dpp v5, v1, v2, v3 row_ror:15
// GFX11: v_fma_f32_e64_dpp v5, v1, v2, v3 row_ror:15 row_mask:0xf bank_mask:0xf ; encoding: [0x05,0x00,0x13,0xd6,0xfa,0x04,0x0e,0x04,0x01,0x2f,0x01,0xff]

v_fma_f32_e64_dpp v5, v1, v2, v3 row_share:0
// GFX11: v_fma_f32_e64_dpp v5, v1, v2, v3 row_share:0 row_mask:0xf bank_mask:0xf ; encoding: [0x05,0x00,0x13,0xd6,0xfa,0x04,0x0e,0x04,0x01,0x50,0x01,0xff]

v_fma_f32_e64_dpp v5, v1, v2, v3 row_share:15
// GFX11: v_fma_f32_e64_dpp v5, v1, v2, v3 row_share:15 row_mask:0xf bank_mask:0xf ; encoding: [0x05,0x00,0x13,0xd6,0xfa,0x04,0x0e,0x04,0x01,0x5f,0x01,0xff]

v_fma_f32_e64_dpp v5, v1, v2, v3 row_shl:1
// GFX11: v_fma_f32_e64_dpp v5, v1, v2, v3 row_shl:1 row_mask:0xf bank_mask:0xf ; encoding: [0x05,0x00,0x13,0xd6,0xfa,0x04,0x0e,0x04,0x01,0x01,0x01,0xff]

v_fma_f32_e64_dpp v5, v1, v2, v3 row_shl:15
// GFX11: v_fma_f32_e64_dpp v5, v1, v2, v3 row_shl:15 row_mask:0xf bank_mask:0xf ; encoding: [0x05,0x00,0x13,0xd6,0xfa,0x04,0x0e,0x04,0x01,0x0f,0x01,0xff]

v_fma_f32_e64_dpp v5, v1, v2, v3 row_shr:1
// GFX11: v_fma_f32_e64_dpp v5, v1, v2, v3 row_shr:1 row_mask:0xf bank_mask:0xf ; encoding: [0x05,0x00,0x13,0xd6,0xfa,0x04,0x0e,0x04,0x01,0x11,0x01,0xff]

v_fma_f32_e64_dpp v5, v1, v2, v3 row_shr:15
// GFX11: v_fma_f32_e64_dpp v5, v1, v2, v3 row_shr:15 row_mask:0xf bank_mask:0xf ; encoding: [0x05,0x00,0x13,0xd6,0xfa,0x04,0x0e,0x04,0x01,0x1f,0x01,0xff]

v_fma_f32_e64_dpp v5, v1, v2, v3 row_xmask:0
// GFX11: v_fma_f32_e64_dpp v5, v1, v2, v3 row_xmask:0 row_mask:0xf bank_mask:0xf ; encoding: [0x05,0x00,0x13,0xd6,0xfa,0x04,0x0e,0x04,0x01,0x60,0x01,0xff]

v_fma_f32_e64_dpp v5, v1, v2, v3 row_xmask:15
// GFX11: v_fma_f32_e64_dpp v5, v1, v2, v3 row_xmask:15 row_mask:0xf bank_mask:0xf ; encoding: [0x05,0x00,0x13,0xd6,0xfa,0x04,0x0e,0x04,0x01,0x6f,0x01,0xff]

v_fma_f32_e64_dpp v5, v1, v2, v3 quad_perm:[3,2,1,0] fi:0
// GFX11: v_fma_f32_e64_dpp v5, v1, v2, v3 quad_perm:[3,2,1,0] row_mask:0xf bank_mask:0xf ; encoding: [0x05,0x00,0x13,0xd6,0xfa,0x04,0x0e,0x04,0x01,0x1b,0x00,0xff]

v_fma_f32_e64_dpp v5, v1, v2, v3 quad_perm:[3,2,1,0] fi:1
// GFX11: v_fma_f32_e64_dpp v5, v1, v2, v3 quad_perm:[3,2,1,0] row_mask:0xf bank_mask:0xf fi:1 ; encoding: [0x05,0x00,0x13,0xd6,0xfa,0x04,0x0e,0x04,0x01,0x1b,0x04,0xff]

v_fma_f32_e64_dpp v5, v1, v2, v3 div:2 quad_perm:[3,2,1,0]
// GFX11: v_fma_f32_e64_dpp v5, v1, v2, v3 div:2 quad_perm:[3,2,1,0] row_mask:0xf bank_mask:0xf ; encoding: [0x05,0x00,0x13,0xd6,0xfa,0x04,0x0e,0x1c,0x01,0x1b,0x00,0xff]

v_fma_f32_e64_dpp v5, v1, v2, v3 mul:2 quad_perm:[3,2,1,0]
// GFX11: v_fma_f32_e64_dpp v5, v1, v2, v3 mul:2 quad_perm:[3,2,1,0] row_mask:0xf bank_mask:0xf ; encoding: [0x05,0x00,0x13,0xd6,0xfa,0x04,0x0e,0x0c,0x01,0x1b,0x00,0xff]

v_fma_f32_e64_dpp v5, v1, v2, v3 mul:4 quad_perm:[3,2,1,0]
// GFX11: v_fma_f32_e64_dpp v5, v1, v2, v3 mul:4 quad_perm:[3,2,1,0] row_mask:0xf bank_mask:0xf ; encoding: [0x05,0x00,0x13,0xd6,0xfa,0x04,0x0e,0x14,0x01,0x1b,0x00,0xff]

v_fma_f32_e64_dpp v5, v1, v2, v3 quad_perm:[3,2,1,0] row_mask:0x0 bank_mask:0x1
// GFX11: v_fma_f32_e64_dpp v5, v1, v2, v3 quad_perm:[3,2,1,0] row_mask:0x0 bank_mask:0x1 ; encoding: [0x05,0x00,0x13,0xd6,0xfa,0x04,0x0e,0x04,0x01,0x1b,0x00,0x01]

v_fma_f32_e64_dpp v5, v1, v2, v3 quad_perm:[3,2,1,0] row_mask:0x3 bank_mask:0x0
// GFX11: v_fma_f32_e64_dpp v5, v1, v2, v3 quad_perm:[3,2,1,0] row_mask:0x3 bank_mask:0x0 ; encoding: [0x05,0x00,0x13,0xd6,0xfa,0x04,0x0e,0x04,0x01,0x1b,0x00,0x30]

v_fma_f32_e64_dpp v5, v1, v2, v3 quad_perm:[3,2,1,0] row_mask:0xf bank_mask:0xf
// GFX11: v_fma_f32_e64_dpp v5, v1, v2, v3 quad_perm:[3,2,1,0] row_mask:0xf bank_mask:0xf ; encoding: [0x05,0x00,0x13,0xd6,0xfa,0x04,0x0e,0x04,0x01,0x1b,0x00,0xff]

v_fma_f32_e64_dpp v5, v1, v2, v3 clamp quad_perm:[3,2,1,0]
// GFX11: v_fma_f32_e64_dpp v5, v1, v2, v3 clamp quad_perm:[3,2,1,0] row_mask:0xf bank_mask:0xf ; encoding: [0x05,0x80,0x13,0xd6,0xfa,0x04,0x0e,0x04,0x01,0x1b,0x00,0xff]

v_ldexp_f32_e64_dpp v5, v1, v2 quad_perm:[3,2,1,0]
// GFX11: v_ldexp_f32_e64_dpp v5, v1, v2 quad_perm:[3,2,1,0] row_mask:0xf bank_mask:0xf ; encoding: [0x05,0x00,0x1c,0xd7,0xfa,0x04,0x02,0x00,0x01,0x1b,0x00,0xff]

v_ldexp_f32_e64_dpp v255, v255, v255 quad_perm:[3,2,1,0]
// GFX11: v_ldexp_f32_e64_dpp v255, v255, v255 quad_perm:[3,2,1,0] row_mask:0xf bank_mask:0xf ; encoding: [0xff,0x00,0x1c,0xd7,0xfa,0xfe,0x03,0x00,0xff,0x1b,0x00,0xff]

v_ldexp_f32_e64_dpp v5, -v7, v2 quad_perm:[3,2,1,0]
// GFX11: v_ldexp_f32_e64_dpp v5, -v7, v2 quad_perm:[3,2,1,0] row_mask:0xf bank_mask:0xf ; encoding: [0x05,0x00,0x1c,0xd7,0xfa,0x04,0x02,0x20,0x07,0x1b,0x00,0xff]

v_ldexp_f32_e64_dpp v5, |v7|, v2 quad_perm:[3,2,1,0]
// GFX11: v_ldexp_f32_e64_dpp v5, |v7|, v2 quad_perm:[3,2,1,0] row_mask:0xf bank_mask:0xf ; encoding: [0x05,0x01,0x1c,0xd7,0xfa,0x04,0x02,0x00,0x07,0x1b,0x00,0xff]

v_ldexp_f32_e64_dpp v5, -|v7|, v2 quad_perm:[3,2,1,0]
// GFX11: v_ldexp_f32_e64_dpp v5, -|v7|, v2 quad_perm:[3,2,1,0] row_mask:0xf bank_mask:0xf ; encoding: [0x05,0x01,0x1c,0xd7,0xfa,0x04,0x02,0x20,0x07,0x1b,0x00,0xff]

v_ldexp_f32_e64_dpp v5, v1, v2 quad_perm:[3,2,1,0] bound_ctrl:0
// GFX11: v_ldexp_f32_e64_dpp v5, v1, v2 quad_perm:[3,2,1,0] row_mask:0xf bank_mask:0xf ; encoding: [0x05,0x00,0x1c,0xd7,0xfa,0x04,0x02,0x00,0x01,0x1b,0x00,0xff]

v_ldexp_f32_e64_dpp v5, v1, v2 quad_perm:[3,2,1,0] bound_ctrl:1
// GFX11: v_ldexp_f32_e64_dpp v5, v1, v2 quad_perm:[3,2,1,0] row_mask:0xf bank_mask:0xf bound_ctrl:1 ; encoding: [0x05,0x00,0x1c,0xd7,0xfa,0x04,0x02,0x00,0x01,0x1b,0x08,0xff]

v_ldexp_f32_e64_dpp v5, v1, v2 quad_perm:[0,1,2,3]
// GFX11: v_ldexp_f32_e64_dpp v5, v1, v2 quad_perm:[0,1,2,3] row_mask:0xf bank_mask:0xf ; encoding: [0x05,0x00,0x1c,0xd7,0xfa,0x04,0x02,0x00,0x01,0xe4,0x00,0xff]

v_ldexp_f32_e64_dpp v5, v1, v2 row_half_mirror
// GFX11: v_ldexp_f32_e64_dpp v5, v1, v2 row_half_mirror row_mask:0xf bank_mask:0xf ; encoding: [0x05,0x00,0x1c,0xd7,0xfa,0x04,0x02,0x00,0x01,0x41,0x01,0xff]

v_ldexp_f32_e64_dpp v5, v1, v2 row_mirror
// GFX11: v_ldexp_f32_e64_dpp v5, v1, v2 row_mirror row_mask:0xf bank_mask:0xf ; encoding: [0x05,0x00,0x1c,0xd7,0xfa,0x04,0x02,0x00,0x01,0x40,0x01,0xff]

v_ldexp_f32_e64_dpp v5, v1, v2 row_ror:1
// GFX11: v_ldexp_f32_e64_dpp v5, v1, v2 row_ror:1 row_mask:0xf bank_mask:0xf ; encoding: [0x05,0x00,0x1c,0xd7,0xfa,0x04,0x02,0x00,0x01,0x21,0x01,0xff]

v_ldexp_f32_e64_dpp v5, v1, v2 row_ror:15
// GFX11: v_ldexp_f32_e64_dpp v5, v1, v2 row_ror:15 row_mask:0xf bank_mask:0xf ; encoding: [0x05,0x00,0x1c,0xd7,0xfa,0x04,0x02,0x00,0x01,0x2f,0x01,0xff]

v_ldexp_f32_e64_dpp v5, v1, v2 row_share:0
// GFX11: v_ldexp_f32_e64_dpp v5, v1, v2 row_share:0 row_mask:0xf bank_mask:0xf ; encoding: [0x05,0x00,0x1c,0xd7,0xfa,0x04,0x02,0x00,0x01,0x50,0x01,0xff]

v_ldexp_f32_e64_dpp v5, v1, v2 row_share:15
// GFX11: v_ldexp_f32_e64_dpp v5, v1, v2 row_share:15 row_mask:0xf bank_mask:0xf ; encoding: [0x05,0x00,0x1c,0xd7,0xfa,0x04,0x02,0x00,0x01,0x5f,0x01,0xff]

v_ldexp_f32_e64_dpp v5, v1, v2 row_shl:1
// GFX11: v_ldexp_f32_e64_dpp v5, v1, v2 row_shl:1 row_mask:0xf bank_mask:0xf ; encoding: [0x05,0x00,0x1c,0xd7,0xfa,0x04,0x02,0x00,0x01,0x01,0x01,0xff]

v_ldexp_f32_e64_dpp v5, v1, v2 row_shl:15
// GFX11: v_ldexp_f32_e64_dpp v5, v1, v2 row_shl:15 row_mask:0xf bank_mask:0xf ; encoding: [0x05,0x00,0x1c,0xd7,0xfa,0x04,0x02,0x00,0x01,0x0f,0x01,0xff]

v_ldexp_f32_e64_dpp v5, v1, v2 row_shr:1
// GFX11: v_ldexp_f32_e64_dpp v5, v1, v2 row_shr:1 row_mask:0xf bank_mask:0xf ; encoding: [0x05,0x00,0x1c,0xd7,0xfa,0x04,0x02,0x00,0x01,0x11,0x01,0xff]

v_ldexp_f32_e64_dpp v5, v1, v2 row_shr:15
// GFX11: v_ldexp_f32_e64_dpp v5, v1, v2 row_shr:15 row_mask:0xf bank_mask:0xf ; encoding: [0x05,0x00,0x1c,0xd7,0xfa,0x04,0x02,0x00,0x01,0x1f,0x01,0xff]

v_ldexp_f32_e64_dpp v5, v1, v2 row_xmask:0
// GFX11: v_ldexp_f32_e64_dpp v5, v1, v2 row_xmask:0 row_mask:0xf bank_mask:0xf ; encoding: [0x05,0x00,0x1c,0xd7,0xfa,0x04,0x02,0x00,0x01,0x60,0x01,0xff]

v_ldexp_f32_e64_dpp v5, v1, v2 row_xmask:15
// GFX11: v_ldexp_f32_e64_dpp v5, v1, v2 row_xmask:15 row_mask:0xf bank_mask:0xf ; encoding: [0x05,0x00,0x1c,0xd7,0xfa,0x04,0x02,0x00,0x01,0x6f,0x01,0xff]

v_ldexp_f32_e64_dpp v5, v1, v2 quad_perm:[3,2,1,0] fi:0
// GFX11: v_ldexp_f32_e64_dpp v5, v1, v2 quad_perm:[3,2,1,0] row_mask:0xf bank_mask:0xf ; encoding: [0x05,0x00,0x1c,0xd7,0xfa,0x04,0x02,0x00,0x01,0x1b,0x00,0xff]

v_ldexp_f32_e64_dpp v5, v1, v2 quad_perm:[3,2,1,0] fi:1
// GFX11: v_ldexp_f32_e64_dpp v5, v1, v2 quad_perm:[3,2,1,0] row_mask:0xf bank_mask:0xf fi:1 ; encoding: [0x05,0x00,0x1c,0xd7,0xfa,0x04,0x02,0x00,0x01,0x1b,0x04,0xff]

v_ldexp_f32_e64_dpp v5, v1, v2 div:2 quad_perm:[3,2,1,0]
// GFX11: v_ldexp_f32_e64_dpp v5, v1, v2 div:2 quad_perm:[3,2,1,0] row_mask:0xf bank_mask:0xf ; encoding: [0x05,0x00,0x1c,0xd7,0xfa,0x04,0x02,0x18,0x01,0x1b,0x00,0xff]

v_ldexp_f32_e64_dpp v5, v1, v2 mul:2 quad_perm:[3,2,1,0]
// GFX11: v_ldexp_f32_e64_dpp v5, v1, v2 mul:2 quad_perm:[3,2,1,0] row_mask:0xf bank_mask:0xf ; encoding: [0x05,0x00,0x1c,0xd7,0xfa,0x04,0x02,0x08,0x01,0x1b,0x00,0xff]

v_ldexp_f32_e64_dpp v5, v1, v2 mul:4 quad_perm:[3,2,1,0]
// GFX11: v_ldexp_f32_e64_dpp v5, v1, v2 mul:4 quad_perm:[3,2,1,0] row_mask:0xf bank_mask:0xf ; encoding: [0x05,0x00,0x1c,0xd7,0xfa,0x04,0x02,0x10,0x01,0x1b,0x00,0xff]

v_ldexp_f32_e64_dpp v5, v1, v2 quad_perm:[3,2,1,0] row_mask:0x0 bank_mask:0x1
// GFX11: v_ldexp_f32_e64_dpp v5, v1, v2 quad_perm:[3,2,1,0] row_mask:0x0 bank_mask:0x1 ; encoding: [0x05,0x00,0x1c,0xd7,0xfa,0x04,0x02,0x00,0x01,0x1b,0x00,0x01]

v_ldexp_f32_e64_dpp v5, v1, v2 quad_perm:[3,2,1,0] row_mask:0x3 bank_mask:0x0
// GFX11: v_ldexp_f32_e64_dpp v5, v1, v2 quad_perm:[3,2,1,0] row_mask:0x3 bank_mask:0x0 ; encoding: [0x05,0x00,0x1c,0xd7,0xfa,0x04,0x02,0x00,0x01,0x1b,0x00,0x30]
	;; [unrolled: 3-line block ×3, first 2 shown]

v_ldexp_f32_e64_dpp v5, v1, v2 clamp quad_perm:[3,2,1,0]
// GFX11: v_ldexp_f32_e64_dpp v5, v1, v2 clamp quad_perm:[3,2,1,0] row_mask:0xf bank_mask:0xf ; encoding: [0x05,0x80,0x1c,0xd7,0xfa,0x04,0x02,0x00,0x01,0x1b,0x00,0xff]

v_lerp_u8_e64_dpp v5, v1, v2, v3 quad_perm:[3,2,1,0]
// GFX11: v_lerp_u8_e64_dpp v5, v1, v2, v3 quad_perm:[3,2,1,0] row_mask:0xf bank_mask:0xf ; encoding: [0x05,0x00,0x15,0xd6,0xfa,0x04,0x0e,0x04,0x01,0x1b,0x00,0xff]

v_lerp_u8_e64_dpp v255, v255, v255, v255 quad_perm:[3,2,1,0]
// GFX11: v_lerp_u8_e64_dpp v255, v255, v255, v255 quad_perm:[3,2,1,0] row_mask:0xf bank_mask:0xf ; encoding: [0xff,0x00,0x15,0xd6,0xfa,0xfe,0xff,0x07,0xff,0x1b,0x00,0xff]

v_lerp_u8_e64_dpp v5, v1, v2, -1 quad_perm:[3,2,1,0]
// GFX11: v_lerp_u8_e64_dpp v5, v1, v2, -1 quad_perm:[3,2,1,0] row_mask:0xf bank_mask:0xf ; encoding: [0x05,0x00,0x15,0xd6,0xfa,0x04,0x06,0x03,0x01,0x1b,0x00,0xff]

v_lerp_u8_e64_dpp v5, v1, v2, 0.5 quad_perm:[3,2,1,0]
// GFX11: v_lerp_u8_e64_dpp v5, v1, v2, 0.5 quad_perm:[3,2,1,0] row_mask:0xf bank_mask:0xf ; encoding: [0x05,0x00,0x15,0xd6,0xfa,0x04,0xc2,0x03,0x01,0x1b,0x00,0xff]

v_lerp_u8_e64_dpp v5, v1, v2, exec_hi quad_perm:[3,2,1,0]
// GFX11: v_lerp_u8_e64_dpp v5, v1, v2, exec_hi quad_perm:[3,2,1,0] row_mask:0xf bank_mask:0xf ; encoding: [0x05,0x00,0x15,0xd6,0xfa,0x04,0xfe,0x01,0x01,0x1b,0x00,0xff]

v_lerp_u8_e64_dpp v5, v1, v2, exec_lo quad_perm:[3,2,1,0]
// GFX11: v_lerp_u8_e64_dpp v5, v1, v2, exec_lo quad_perm:[3,2,1,0] row_mask:0xf bank_mask:0xf ; encoding: [0x05,0x00,0x15,0xd6,0xfa,0x04,0xfa,0x01,0x01,0x1b,0x00,0xff]

v_lerp_u8_e64_dpp v5, v1, v2, m0 quad_perm:[3,2,1,0]
// GFX11: v_lerp_u8_e64_dpp v5, v1, v2, m0 quad_perm:[3,2,1,0] row_mask:0xf bank_mask:0xf ; encoding: [0x05,0x00,0x15,0xd6,0xfa,0x04,0xf6,0x01,0x01,0x1b,0x00,0xff]

v_lerp_u8_e64_dpp v5, v1, v2, null quad_perm:[3,2,1,0]
// GFX11: v_lerp_u8_e64_dpp v5, v1, v2, null quad_perm:[3,2,1,0] row_mask:0xf bank_mask:0xf ; encoding: [0x05,0x00,0x15,0xd6,0xfa,0x04,0xf2,0x01,0x01,0x1b,0x00,0xff]

v_lerp_u8_e64_dpp v5, v1, v2, s105 quad_perm:[3,2,1,0]
// GFX11: v_lerp_u8_e64_dpp v5, v1, v2, s105 quad_perm:[3,2,1,0] row_mask:0xf bank_mask:0xf ; encoding: [0x05,0x00,0x15,0xd6,0xfa,0x04,0xa6,0x01,0x01,0x1b,0x00,0xff]

v_lerp_u8_e64_dpp v5, v1, v2, s3 quad_perm:[3,2,1,0]
// GFX11: v_lerp_u8_e64_dpp v5, v1, v2, s3 quad_perm:[3,2,1,0] row_mask:0xf bank_mask:0xf ; encoding: [0x05,0x00,0x15,0xd6,0xfa,0x04,0x0e,0x00,0x01,0x1b,0x00,0xff]

v_lerp_u8_e64_dpp v5, v1, v2, src_scc quad_perm:[3,2,1,0]
// GFX11: v_lerp_u8_e64_dpp v5, v1, v2, src_scc quad_perm:[3,2,1,0] row_mask:0xf bank_mask:0xf ; encoding: [0x05,0x00,0x15,0xd6,0xfa,0x04,0xf6,0x03,0x01,0x1b,0x00,0xff]

v_lerp_u8_e64_dpp v5, v1, v2, ttmp15 quad_perm:[3,2,1,0]
// GFX11: v_lerp_u8_e64_dpp v5, v1, v2, ttmp15 quad_perm:[3,2,1,0] row_mask:0xf bank_mask:0xf ; encoding: [0x05,0x00,0x15,0xd6,0xfa,0x04,0xee,0x01,0x01,0x1b,0x00,0xff]

v_lerp_u8_e64_dpp v5, v1, v2, v255 quad_perm:[3,2,1,0]
// GFX11: v_lerp_u8_e64_dpp v5, v1, v2, v255 quad_perm:[3,2,1,0] row_mask:0xf bank_mask:0xf ; encoding: [0x05,0x00,0x15,0xd6,0xfa,0x04,0xfe,0x07,0x01,0x1b,0x00,0xff]

v_lerp_u8_e64_dpp v5, v1, v2, vcc_hi quad_perm:[3,2,1,0]
// GFX11: v_lerp_u8_e64_dpp v5, v1, v2, vcc_hi quad_perm:[3,2,1,0] row_mask:0xf bank_mask:0xf ; encoding: [0x05,0x00,0x15,0xd6,0xfa,0x04,0xae,0x01,0x01,0x1b,0x00,0xff]

v_lerp_u8_e64_dpp v5, v1, v2, vcc_lo quad_perm:[3,2,1,0]
// GFX11: v_lerp_u8_e64_dpp v5, v1, v2, vcc_lo quad_perm:[3,2,1,0] row_mask:0xf bank_mask:0xf ; encoding: [0x05,0x00,0x15,0xd6,0xfa,0x04,0xaa,0x01,0x01,0x1b,0x00,0xff]

v_lerp_u8_e64_dpp v5, v1, v2, v3 quad_perm:[3,2,1,0] bound_ctrl:0
// GFX11: v_lerp_u8_e64_dpp v5, v1, v2, v3 quad_perm:[3,2,1,0] row_mask:0xf bank_mask:0xf ; encoding: [0x05,0x00,0x15,0xd6,0xfa,0x04,0x0e,0x04,0x01,0x1b,0x00,0xff]

v_lerp_u8_e64_dpp v5, v1, v2, v3 quad_perm:[3,2,1,0] bound_ctrl:1
// GFX11: v_lerp_u8_e64_dpp v5, v1, v2, v3 quad_perm:[3,2,1,0] row_mask:0xf bank_mask:0xf bound_ctrl:1 ; encoding: [0x05,0x00,0x15,0xd6,0xfa,0x04,0x0e,0x04,0x01,0x1b,0x08,0xff]

v_lerp_u8_e64_dpp v5, v1, v2, v3 quad_perm:[0,1,2,3]
// GFX11: v_lerp_u8_e64_dpp v5, v1, v2, v3 quad_perm:[0,1,2,3] row_mask:0xf bank_mask:0xf ; encoding: [0x05,0x00,0x15,0xd6,0xfa,0x04,0x0e,0x04,0x01,0xe4,0x00,0xff]

v_lerp_u8_e64_dpp v5, v1, v2, v3 row_half_mirror
// GFX11: v_lerp_u8_e64_dpp v5, v1, v2, v3 row_half_mirror row_mask:0xf bank_mask:0xf ; encoding: [0x05,0x00,0x15,0xd6,0xfa,0x04,0x0e,0x04,0x01,0x41,0x01,0xff]

v_lerp_u8_e64_dpp v5, v1, v2, v3 row_mirror
// GFX11: v_lerp_u8_e64_dpp v5, v1, v2, v3 row_mirror row_mask:0xf bank_mask:0xf ; encoding: [0x05,0x00,0x15,0xd6,0xfa,0x04,0x0e,0x04,0x01,0x40,0x01,0xff]

v_lerp_u8_e64_dpp v5, v1, v2, v3 row_ror:1
// GFX11: v_lerp_u8_e64_dpp v5, v1, v2, v3 row_ror:1 row_mask:0xf bank_mask:0xf ; encoding: [0x05,0x00,0x15,0xd6,0xfa,0x04,0x0e,0x04,0x01,0x21,0x01,0xff]

v_lerp_u8_e64_dpp v5, v1, v2, v3 row_ror:15
// GFX11: v_lerp_u8_e64_dpp v5, v1, v2, v3 row_ror:15 row_mask:0xf bank_mask:0xf ; encoding: [0x05,0x00,0x15,0xd6,0xfa,0x04,0x0e,0x04,0x01,0x2f,0x01,0xff]

v_lerp_u8_e64_dpp v5, v1, v2, v3 row_share:0
// GFX11: v_lerp_u8_e64_dpp v5, v1, v2, v3 row_share:0 row_mask:0xf bank_mask:0xf ; encoding: [0x05,0x00,0x15,0xd6,0xfa,0x04,0x0e,0x04,0x01,0x50,0x01,0xff]

v_lerp_u8_e64_dpp v5, v1, v2, v3 row_share:15
// GFX11: v_lerp_u8_e64_dpp v5, v1, v2, v3 row_share:15 row_mask:0xf bank_mask:0xf ; encoding: [0x05,0x00,0x15,0xd6,0xfa,0x04,0x0e,0x04,0x01,0x5f,0x01,0xff]

v_lerp_u8_e64_dpp v5, v1, v2, v3 row_shl:1
// GFX11: v_lerp_u8_e64_dpp v5, v1, v2, v3 row_shl:1 row_mask:0xf bank_mask:0xf ; encoding: [0x05,0x00,0x15,0xd6,0xfa,0x04,0x0e,0x04,0x01,0x01,0x01,0xff]

v_lerp_u8_e64_dpp v5, v1, v2, v3 row_shl:15
// GFX11: v_lerp_u8_e64_dpp v5, v1, v2, v3 row_shl:15 row_mask:0xf bank_mask:0xf ; encoding: [0x05,0x00,0x15,0xd6,0xfa,0x04,0x0e,0x04,0x01,0x0f,0x01,0xff]

v_lerp_u8_e64_dpp v5, v1, v2, v3 row_shr:1
// GFX11: v_lerp_u8_e64_dpp v5, v1, v2, v3 row_shr:1 row_mask:0xf bank_mask:0xf ; encoding: [0x05,0x00,0x15,0xd6,0xfa,0x04,0x0e,0x04,0x01,0x11,0x01,0xff]

v_lerp_u8_e64_dpp v5, v1, v2, v3 row_shr:15
// GFX11: v_lerp_u8_e64_dpp v5, v1, v2, v3 row_shr:15 row_mask:0xf bank_mask:0xf ; encoding: [0x05,0x00,0x15,0xd6,0xfa,0x04,0x0e,0x04,0x01,0x1f,0x01,0xff]

v_lerp_u8_e64_dpp v5, v1, v2, v3 row_xmask:0
// GFX11: v_lerp_u8_e64_dpp v5, v1, v2, v3 row_xmask:0 row_mask:0xf bank_mask:0xf ; encoding: [0x05,0x00,0x15,0xd6,0xfa,0x04,0x0e,0x04,0x01,0x60,0x01,0xff]

v_lerp_u8_e64_dpp v5, v1, v2, v3 row_xmask:15
// GFX11: v_lerp_u8_e64_dpp v5, v1, v2, v3 row_xmask:15 row_mask:0xf bank_mask:0xf ; encoding: [0x05,0x00,0x15,0xd6,0xfa,0x04,0x0e,0x04,0x01,0x6f,0x01,0xff]

v_lerp_u8_e64_dpp v5, v1, v2, v3 quad_perm:[3,2,1,0] fi:0
// GFX11: v_lerp_u8_e64_dpp v5, v1, v2, v3 quad_perm:[3,2,1,0] row_mask:0xf bank_mask:0xf ; encoding: [0x05,0x00,0x15,0xd6,0xfa,0x04,0x0e,0x04,0x01,0x1b,0x00,0xff]

v_lerp_u8_e64_dpp v5, v1, v2, v3 quad_perm:[3,2,1,0] fi:1
// GFX11: v_lerp_u8_e64_dpp v5, v1, v2, v3 quad_perm:[3,2,1,0] row_mask:0xf bank_mask:0xf fi:1 ; encoding: [0x05,0x00,0x15,0xd6,0xfa,0x04,0x0e,0x04,0x01,0x1b,0x04,0xff]

v_lerp_u8_e64_dpp v5, v1, v2, v3 quad_perm:[3,2,1,0] row_mask:0x0 bank_mask:0x1
// GFX11: v_lerp_u8_e64_dpp v5, v1, v2, v3 quad_perm:[3,2,1,0] row_mask:0x0 bank_mask:0x1 ; encoding: [0x05,0x00,0x15,0xd6,0xfa,0x04,0x0e,0x04,0x01,0x1b,0x00,0x01]

v_lerp_u8_e64_dpp v5, v1, v2, v3 quad_perm:[3,2,1,0] row_mask:0x3 bank_mask:0x0
// GFX11: v_lerp_u8_e64_dpp v5, v1, v2, v3 quad_perm:[3,2,1,0] row_mask:0x3 bank_mask:0x0 ; encoding: [0x05,0x00,0x15,0xd6,0xfa,0x04,0x0e,0x04,0x01,0x1b,0x00,0x30]
	;; [unrolled: 3-line block ×3, first 2 shown]

v_lshl_add_u32_e64_dpp v5, v1, v2, v3 quad_perm:[3,2,1,0]
// GFX11: v_lshl_add_u32_e64_dpp v5, v1, v2, v3 quad_perm:[3,2,1,0] row_mask:0xf bank_mask:0xf ; encoding: [0x05,0x00,0x46,0xd6,0xfa,0x04,0x0e,0x04,0x01,0x1b,0x00,0xff]

v_lshl_add_u32_e64_dpp v255, v255, v255, v255 quad_perm:[3,2,1,0]
// GFX11: v_lshl_add_u32_e64_dpp v255, v255, v255, v255 quad_perm:[3,2,1,0] row_mask:0xf bank_mask:0xf ; encoding: [0xff,0x00,0x46,0xd6,0xfa,0xfe,0xff,0x07,0xff,0x1b,0x00,0xff]

v_lshl_add_u32_e64_dpp v5, v1, v2, -1 quad_perm:[3,2,1,0]
// GFX11: v_lshl_add_u32_e64_dpp v5, v1, v2, -1 quad_perm:[3,2,1,0] row_mask:0xf bank_mask:0xf ; encoding: [0x05,0x00,0x46,0xd6,0xfa,0x04,0x06,0x03,0x01,0x1b,0x00,0xff]

v_lshl_add_u32_e64_dpp v5, v1, v2, 0.5 quad_perm:[3,2,1,0]
// GFX11: v_lshl_add_u32_e64_dpp v5, v1, v2, 0.5 quad_perm:[3,2,1,0] row_mask:0xf bank_mask:0xf ; encoding: [0x05,0x00,0x46,0xd6,0xfa,0x04,0xc2,0x03,0x01,0x1b,0x00,0xff]

v_lshl_add_u32_e64_dpp v5, v1, v2, exec_hi quad_perm:[3,2,1,0]
// GFX11: v_lshl_add_u32_e64_dpp v5, v1, v2, exec_hi quad_perm:[3,2,1,0] row_mask:0xf bank_mask:0xf ; encoding: [0x05,0x00,0x46,0xd6,0xfa,0x04,0xfe,0x01,0x01,0x1b,0x00,0xff]

v_lshl_add_u32_e64_dpp v5, v1, v2, exec_lo quad_perm:[3,2,1,0]
// GFX11: v_lshl_add_u32_e64_dpp v5, v1, v2, exec_lo quad_perm:[3,2,1,0] row_mask:0xf bank_mask:0xf ; encoding: [0x05,0x00,0x46,0xd6,0xfa,0x04,0xfa,0x01,0x01,0x1b,0x00,0xff]

v_lshl_add_u32_e64_dpp v5, v1, v2, m0 quad_perm:[3,2,1,0]
// GFX11: v_lshl_add_u32_e64_dpp v5, v1, v2, m0 quad_perm:[3,2,1,0] row_mask:0xf bank_mask:0xf ; encoding: [0x05,0x00,0x46,0xd6,0xfa,0x04,0xf6,0x01,0x01,0x1b,0x00,0xff]

v_lshl_add_u32_e64_dpp v5, v1, v2, null quad_perm:[3,2,1,0]
// GFX11: v_lshl_add_u32_e64_dpp v5, v1, v2, null quad_perm:[3,2,1,0] row_mask:0xf bank_mask:0xf ; encoding: [0x05,0x00,0x46,0xd6,0xfa,0x04,0xf2,0x01,0x01,0x1b,0x00,0xff]

v_lshl_add_u32_e64_dpp v5, v1, v2, s105 quad_perm:[3,2,1,0]
// GFX11: v_lshl_add_u32_e64_dpp v5, v1, v2, s105 quad_perm:[3,2,1,0] row_mask:0xf bank_mask:0xf ; encoding: [0x05,0x00,0x46,0xd6,0xfa,0x04,0xa6,0x01,0x01,0x1b,0x00,0xff]

v_lshl_add_u32_e64_dpp v5, v1, v2, s3 quad_perm:[3,2,1,0]
// GFX11: v_lshl_add_u32_e64_dpp v5, v1, v2, s3 quad_perm:[3,2,1,0] row_mask:0xf bank_mask:0xf ; encoding: [0x05,0x00,0x46,0xd6,0xfa,0x04,0x0e,0x00,0x01,0x1b,0x00,0xff]

v_lshl_add_u32_e64_dpp v5, v1, v2, src_scc quad_perm:[3,2,1,0]
// GFX11: v_lshl_add_u32_e64_dpp v5, v1, v2, src_scc quad_perm:[3,2,1,0] row_mask:0xf bank_mask:0xf ; encoding: [0x05,0x00,0x46,0xd6,0xfa,0x04,0xf6,0x03,0x01,0x1b,0x00,0xff]

v_lshl_add_u32_e64_dpp v5, v1, v2, ttmp15 quad_perm:[3,2,1,0]
// GFX11: v_lshl_add_u32_e64_dpp v5, v1, v2, ttmp15 quad_perm:[3,2,1,0] row_mask:0xf bank_mask:0xf ; encoding: [0x05,0x00,0x46,0xd6,0xfa,0x04,0xee,0x01,0x01,0x1b,0x00,0xff]

v_lshl_add_u32_e64_dpp v5, v1, v2, v255 quad_perm:[3,2,1,0]
// GFX11: v_lshl_add_u32_e64_dpp v5, v1, v2, v255 quad_perm:[3,2,1,0] row_mask:0xf bank_mask:0xf ; encoding: [0x05,0x00,0x46,0xd6,0xfa,0x04,0xfe,0x07,0x01,0x1b,0x00,0xff]

v_lshl_add_u32_e64_dpp v5, v1, v2, vcc_hi quad_perm:[3,2,1,0]
// GFX11: v_lshl_add_u32_e64_dpp v5, v1, v2, vcc_hi quad_perm:[3,2,1,0] row_mask:0xf bank_mask:0xf ; encoding: [0x05,0x00,0x46,0xd6,0xfa,0x04,0xae,0x01,0x01,0x1b,0x00,0xff]

v_lshl_add_u32_e64_dpp v5, v1, v2, vcc_lo quad_perm:[3,2,1,0]
// GFX11: v_lshl_add_u32_e64_dpp v5, v1, v2, vcc_lo quad_perm:[3,2,1,0] row_mask:0xf bank_mask:0xf ; encoding: [0x05,0x00,0x46,0xd6,0xfa,0x04,0xaa,0x01,0x01,0x1b,0x00,0xff]

v_lshl_add_u32_e64_dpp v5, v1, v2, v3 quad_perm:[3,2,1,0] bound_ctrl:0
// GFX11: v_lshl_add_u32_e64_dpp v5, v1, v2, v3 quad_perm:[3,2,1,0] row_mask:0xf bank_mask:0xf ; encoding: [0x05,0x00,0x46,0xd6,0xfa,0x04,0x0e,0x04,0x01,0x1b,0x00,0xff]

v_lshl_add_u32_e64_dpp v5, v1, v2, v3 quad_perm:[3,2,1,0] bound_ctrl:1
// GFX11: v_lshl_add_u32_e64_dpp v5, v1, v2, v3 quad_perm:[3,2,1,0] row_mask:0xf bank_mask:0xf bound_ctrl:1 ; encoding: [0x05,0x00,0x46,0xd6,0xfa,0x04,0x0e,0x04,0x01,0x1b,0x08,0xff]

v_lshl_add_u32_e64_dpp v5, v1, v2, v3 quad_perm:[0,1,2,3]
// GFX11: v_lshl_add_u32_e64_dpp v5, v1, v2, v3 quad_perm:[0,1,2,3] row_mask:0xf bank_mask:0xf ; encoding: [0x05,0x00,0x46,0xd6,0xfa,0x04,0x0e,0x04,0x01,0xe4,0x00,0xff]

v_lshl_add_u32_e64_dpp v5, v1, v2, v3 row_half_mirror
// GFX11: v_lshl_add_u32_e64_dpp v5, v1, v2, v3 row_half_mirror row_mask:0xf bank_mask:0xf ; encoding: [0x05,0x00,0x46,0xd6,0xfa,0x04,0x0e,0x04,0x01,0x41,0x01,0xff]

v_lshl_add_u32_e64_dpp v5, v1, v2, v3 row_mirror
// GFX11: v_lshl_add_u32_e64_dpp v5, v1, v2, v3 row_mirror row_mask:0xf bank_mask:0xf ; encoding: [0x05,0x00,0x46,0xd6,0xfa,0x04,0x0e,0x04,0x01,0x40,0x01,0xff]

v_lshl_add_u32_e64_dpp v5, v1, v2, v3 row_ror:1
// GFX11: v_lshl_add_u32_e64_dpp v5, v1, v2, v3 row_ror:1 row_mask:0xf bank_mask:0xf ; encoding: [0x05,0x00,0x46,0xd6,0xfa,0x04,0x0e,0x04,0x01,0x21,0x01,0xff]

v_lshl_add_u32_e64_dpp v5, v1, v2, v3 row_ror:15
// GFX11: v_lshl_add_u32_e64_dpp v5, v1, v2, v3 row_ror:15 row_mask:0xf bank_mask:0xf ; encoding: [0x05,0x00,0x46,0xd6,0xfa,0x04,0x0e,0x04,0x01,0x2f,0x01,0xff]

v_lshl_add_u32_e64_dpp v5, v1, v2, v3 row_share:0
// GFX11: v_lshl_add_u32_e64_dpp v5, v1, v2, v3 row_share:0 row_mask:0xf bank_mask:0xf ; encoding: [0x05,0x00,0x46,0xd6,0xfa,0x04,0x0e,0x04,0x01,0x50,0x01,0xff]

v_lshl_add_u32_e64_dpp v5, v1, v2, v3 row_share:15
// GFX11: v_lshl_add_u32_e64_dpp v5, v1, v2, v3 row_share:15 row_mask:0xf bank_mask:0xf ; encoding: [0x05,0x00,0x46,0xd6,0xfa,0x04,0x0e,0x04,0x01,0x5f,0x01,0xff]

v_lshl_add_u32_e64_dpp v5, v1, v2, v3 row_shl:1
// GFX11: v_lshl_add_u32_e64_dpp v5, v1, v2, v3 row_shl:1 row_mask:0xf bank_mask:0xf ; encoding: [0x05,0x00,0x46,0xd6,0xfa,0x04,0x0e,0x04,0x01,0x01,0x01,0xff]

v_lshl_add_u32_e64_dpp v5, v1, v2, v3 row_shl:15
// GFX11: v_lshl_add_u32_e64_dpp v5, v1, v2, v3 row_shl:15 row_mask:0xf bank_mask:0xf ; encoding: [0x05,0x00,0x46,0xd6,0xfa,0x04,0x0e,0x04,0x01,0x0f,0x01,0xff]

v_lshl_add_u32_e64_dpp v5, v1, v2, v3 row_shr:1
// GFX11: v_lshl_add_u32_e64_dpp v5, v1, v2, v3 row_shr:1 row_mask:0xf bank_mask:0xf ; encoding: [0x05,0x00,0x46,0xd6,0xfa,0x04,0x0e,0x04,0x01,0x11,0x01,0xff]

v_lshl_add_u32_e64_dpp v5, v1, v2, v3 row_shr:15
// GFX11: v_lshl_add_u32_e64_dpp v5, v1, v2, v3 row_shr:15 row_mask:0xf bank_mask:0xf ; encoding: [0x05,0x00,0x46,0xd6,0xfa,0x04,0x0e,0x04,0x01,0x1f,0x01,0xff]

v_lshl_add_u32_e64_dpp v5, v1, v2, v3 row_xmask:0
// GFX11: v_lshl_add_u32_e64_dpp v5, v1, v2, v3 row_xmask:0 row_mask:0xf bank_mask:0xf ; encoding: [0x05,0x00,0x46,0xd6,0xfa,0x04,0x0e,0x04,0x01,0x60,0x01,0xff]

v_lshl_add_u32_e64_dpp v5, v1, v2, v3 row_xmask:15
// GFX11: v_lshl_add_u32_e64_dpp v5, v1, v2, v3 row_xmask:15 row_mask:0xf bank_mask:0xf ; encoding: [0x05,0x00,0x46,0xd6,0xfa,0x04,0x0e,0x04,0x01,0x6f,0x01,0xff]

v_lshl_add_u32_e64_dpp v5, v1, v2, v3 quad_perm:[3,2,1,0] fi:0
// GFX11: v_lshl_add_u32_e64_dpp v5, v1, v2, v3 quad_perm:[3,2,1,0] row_mask:0xf bank_mask:0xf ; encoding: [0x05,0x00,0x46,0xd6,0xfa,0x04,0x0e,0x04,0x01,0x1b,0x00,0xff]

v_lshl_add_u32_e64_dpp v5, v1, v2, v3 quad_perm:[3,2,1,0] fi:1
// GFX11: v_lshl_add_u32_e64_dpp v5, v1, v2, v3 quad_perm:[3,2,1,0] row_mask:0xf bank_mask:0xf fi:1 ; encoding: [0x05,0x00,0x46,0xd6,0xfa,0x04,0x0e,0x04,0x01,0x1b,0x04,0xff]

v_lshl_add_u32_e64_dpp v5, v1, v2, v3 quad_perm:[3,2,1,0] row_mask:0x0 bank_mask:0x1
// GFX11: v_lshl_add_u32_e64_dpp v5, v1, v2, v3 quad_perm:[3,2,1,0] row_mask:0x0 bank_mask:0x1 ; encoding: [0x05,0x00,0x46,0xd6,0xfa,0x04,0x0e,0x04,0x01,0x1b,0x00,0x01]

v_lshl_add_u32_e64_dpp v5, v1, v2, v3 quad_perm:[3,2,1,0] row_mask:0x3 bank_mask:0x0
// GFX11: v_lshl_add_u32_e64_dpp v5, v1, v2, v3 quad_perm:[3,2,1,0] row_mask:0x3 bank_mask:0x0 ; encoding: [0x05,0x00,0x46,0xd6,0xfa,0x04,0x0e,0x04,0x01,0x1b,0x00,0x30]
	;; [unrolled: 3-line block ×3, first 2 shown]

v_lshl_or_b32_e64_dpp v5, v1, v2, v3 quad_perm:[3,2,1,0]
// GFX11: v_lshl_or_b32_e64_dpp v5, v1, v2, v3 quad_perm:[3,2,1,0] row_mask:0xf bank_mask:0xf ; encoding: [0x05,0x00,0x56,0xd6,0xfa,0x04,0x0e,0x04,0x01,0x1b,0x00,0xff]

v_lshl_or_b32_e64_dpp v255, v255, v255, v255 quad_perm:[3,2,1,0]
// GFX11: v_lshl_or_b32_e64_dpp v255, v255, v255, v255 quad_perm:[3,2,1,0] row_mask:0xf bank_mask:0xf ; encoding: [0xff,0x00,0x56,0xd6,0xfa,0xfe,0xff,0x07,0xff,0x1b,0x00,0xff]

v_lshl_or_b32_e64_dpp v5, v1, v2, -1 quad_perm:[3,2,1,0]
// GFX11: v_lshl_or_b32_e64_dpp v5, v1, v2, -1 quad_perm:[3,2,1,0] row_mask:0xf bank_mask:0xf ; encoding: [0x05,0x00,0x56,0xd6,0xfa,0x04,0x06,0x03,0x01,0x1b,0x00,0xff]

v_lshl_or_b32_e64_dpp v5, v1, v2, 0.5 quad_perm:[3,2,1,0]
// GFX11: v_lshl_or_b32_e64_dpp v5, v1, v2, 0.5 quad_perm:[3,2,1,0] row_mask:0xf bank_mask:0xf ; encoding: [0x05,0x00,0x56,0xd6,0xfa,0x04,0xc2,0x03,0x01,0x1b,0x00,0xff]

v_lshl_or_b32_e64_dpp v5, v1, v2, exec_hi quad_perm:[3,2,1,0]
// GFX11: v_lshl_or_b32_e64_dpp v5, v1, v2, exec_hi quad_perm:[3,2,1,0] row_mask:0xf bank_mask:0xf ; encoding: [0x05,0x00,0x56,0xd6,0xfa,0x04,0xfe,0x01,0x01,0x1b,0x00,0xff]

v_lshl_or_b32_e64_dpp v5, v1, v2, exec_lo quad_perm:[3,2,1,0]
// GFX11: v_lshl_or_b32_e64_dpp v5, v1, v2, exec_lo quad_perm:[3,2,1,0] row_mask:0xf bank_mask:0xf ; encoding: [0x05,0x00,0x56,0xd6,0xfa,0x04,0xfa,0x01,0x01,0x1b,0x00,0xff]

v_lshl_or_b32_e64_dpp v5, v1, v2, m0 quad_perm:[3,2,1,0]
// GFX11: v_lshl_or_b32_e64_dpp v5, v1, v2, m0 quad_perm:[3,2,1,0] row_mask:0xf bank_mask:0xf ; encoding: [0x05,0x00,0x56,0xd6,0xfa,0x04,0xf6,0x01,0x01,0x1b,0x00,0xff]

v_lshl_or_b32_e64_dpp v5, v1, v2, null quad_perm:[3,2,1,0]
// GFX11: v_lshl_or_b32_e64_dpp v5, v1, v2, null quad_perm:[3,2,1,0] row_mask:0xf bank_mask:0xf ; encoding: [0x05,0x00,0x56,0xd6,0xfa,0x04,0xf2,0x01,0x01,0x1b,0x00,0xff]

v_lshl_or_b32_e64_dpp v5, v1, v2, s105 quad_perm:[3,2,1,0]
// GFX11: v_lshl_or_b32_e64_dpp v5, v1, v2, s105 quad_perm:[3,2,1,0] row_mask:0xf bank_mask:0xf ; encoding: [0x05,0x00,0x56,0xd6,0xfa,0x04,0xa6,0x01,0x01,0x1b,0x00,0xff]

v_lshl_or_b32_e64_dpp v5, v1, v2, s3 quad_perm:[3,2,1,0]
// GFX11: v_lshl_or_b32_e64_dpp v5, v1, v2, s3 quad_perm:[3,2,1,0] row_mask:0xf bank_mask:0xf ; encoding: [0x05,0x00,0x56,0xd6,0xfa,0x04,0x0e,0x00,0x01,0x1b,0x00,0xff]

v_lshl_or_b32_e64_dpp v5, v1, v2, src_scc quad_perm:[3,2,1,0]
// GFX11: v_lshl_or_b32_e64_dpp v5, v1, v2, src_scc quad_perm:[3,2,1,0] row_mask:0xf bank_mask:0xf ; encoding: [0x05,0x00,0x56,0xd6,0xfa,0x04,0xf6,0x03,0x01,0x1b,0x00,0xff]

v_lshl_or_b32_e64_dpp v5, v1, v2, ttmp15 quad_perm:[3,2,1,0]
// GFX11: v_lshl_or_b32_e64_dpp v5, v1, v2, ttmp15 quad_perm:[3,2,1,0] row_mask:0xf bank_mask:0xf ; encoding: [0x05,0x00,0x56,0xd6,0xfa,0x04,0xee,0x01,0x01,0x1b,0x00,0xff]

v_lshl_or_b32_e64_dpp v5, v1, v2, v255 quad_perm:[3,2,1,0]
// GFX11: v_lshl_or_b32_e64_dpp v5, v1, v2, v255 quad_perm:[3,2,1,0] row_mask:0xf bank_mask:0xf ; encoding: [0x05,0x00,0x56,0xd6,0xfa,0x04,0xfe,0x07,0x01,0x1b,0x00,0xff]

v_lshl_or_b32_e64_dpp v5, v1, v2, vcc_hi quad_perm:[3,2,1,0]
// GFX11: v_lshl_or_b32_e64_dpp v5, v1, v2, vcc_hi quad_perm:[3,2,1,0] row_mask:0xf bank_mask:0xf ; encoding: [0x05,0x00,0x56,0xd6,0xfa,0x04,0xae,0x01,0x01,0x1b,0x00,0xff]

v_lshl_or_b32_e64_dpp v5, v1, v2, vcc_lo quad_perm:[3,2,1,0]
// GFX11: v_lshl_or_b32_e64_dpp v5, v1, v2, vcc_lo quad_perm:[3,2,1,0] row_mask:0xf bank_mask:0xf ; encoding: [0x05,0x00,0x56,0xd6,0xfa,0x04,0xaa,0x01,0x01,0x1b,0x00,0xff]

v_lshl_or_b32_e64_dpp v5, v1, v2, v3 quad_perm:[3,2,1,0] bound_ctrl:0
// GFX11: v_lshl_or_b32_e64_dpp v5, v1, v2, v3 quad_perm:[3,2,1,0] row_mask:0xf bank_mask:0xf ; encoding: [0x05,0x00,0x56,0xd6,0xfa,0x04,0x0e,0x04,0x01,0x1b,0x00,0xff]

v_lshl_or_b32_e64_dpp v5, v1, v2, v3 quad_perm:[3,2,1,0] bound_ctrl:1
// GFX11: v_lshl_or_b32_e64_dpp v5, v1, v2, v3 quad_perm:[3,2,1,0] row_mask:0xf bank_mask:0xf bound_ctrl:1 ; encoding: [0x05,0x00,0x56,0xd6,0xfa,0x04,0x0e,0x04,0x01,0x1b,0x08,0xff]

v_lshl_or_b32_e64_dpp v5, v1, v2, v3 quad_perm:[0,1,2,3]
// GFX11: v_lshl_or_b32_e64_dpp v5, v1, v2, v3 quad_perm:[0,1,2,3] row_mask:0xf bank_mask:0xf ; encoding: [0x05,0x00,0x56,0xd6,0xfa,0x04,0x0e,0x04,0x01,0xe4,0x00,0xff]

v_lshl_or_b32_e64_dpp v5, v1, v2, v3 row_half_mirror
// GFX11: v_lshl_or_b32_e64_dpp v5, v1, v2, v3 row_half_mirror row_mask:0xf bank_mask:0xf ; encoding: [0x05,0x00,0x56,0xd6,0xfa,0x04,0x0e,0x04,0x01,0x41,0x01,0xff]

v_lshl_or_b32_e64_dpp v5, v1, v2, v3 row_mirror
// GFX11: v_lshl_or_b32_e64_dpp v5, v1, v2, v3 row_mirror row_mask:0xf bank_mask:0xf ; encoding: [0x05,0x00,0x56,0xd6,0xfa,0x04,0x0e,0x04,0x01,0x40,0x01,0xff]

v_lshl_or_b32_e64_dpp v5, v1, v2, v3 row_ror:1
// GFX11: v_lshl_or_b32_e64_dpp v5, v1, v2, v3 row_ror:1 row_mask:0xf bank_mask:0xf ; encoding: [0x05,0x00,0x56,0xd6,0xfa,0x04,0x0e,0x04,0x01,0x21,0x01,0xff]

v_lshl_or_b32_e64_dpp v5, v1, v2, v3 row_ror:15
// GFX11: v_lshl_or_b32_e64_dpp v5, v1, v2, v3 row_ror:15 row_mask:0xf bank_mask:0xf ; encoding: [0x05,0x00,0x56,0xd6,0xfa,0x04,0x0e,0x04,0x01,0x2f,0x01,0xff]

v_lshl_or_b32_e64_dpp v5, v1, v2, v3 row_share:0
// GFX11: v_lshl_or_b32_e64_dpp v5, v1, v2, v3 row_share:0 row_mask:0xf bank_mask:0xf ; encoding: [0x05,0x00,0x56,0xd6,0xfa,0x04,0x0e,0x04,0x01,0x50,0x01,0xff]

v_lshl_or_b32_e64_dpp v5, v1, v2, v3 row_share:15
// GFX11: v_lshl_or_b32_e64_dpp v5, v1, v2, v3 row_share:15 row_mask:0xf bank_mask:0xf ; encoding: [0x05,0x00,0x56,0xd6,0xfa,0x04,0x0e,0x04,0x01,0x5f,0x01,0xff]

v_lshl_or_b32_e64_dpp v5, v1, v2, v3 row_shl:1
// GFX11: v_lshl_or_b32_e64_dpp v5, v1, v2, v3 row_shl:1 row_mask:0xf bank_mask:0xf ; encoding: [0x05,0x00,0x56,0xd6,0xfa,0x04,0x0e,0x04,0x01,0x01,0x01,0xff]

v_lshl_or_b32_e64_dpp v5, v1, v2, v3 row_shl:15
// GFX11: v_lshl_or_b32_e64_dpp v5, v1, v2, v3 row_shl:15 row_mask:0xf bank_mask:0xf ; encoding: [0x05,0x00,0x56,0xd6,0xfa,0x04,0x0e,0x04,0x01,0x0f,0x01,0xff]

v_lshl_or_b32_e64_dpp v5, v1, v2, v3 row_shr:1
// GFX11: v_lshl_or_b32_e64_dpp v5, v1, v2, v3 row_shr:1 row_mask:0xf bank_mask:0xf ; encoding: [0x05,0x00,0x56,0xd6,0xfa,0x04,0x0e,0x04,0x01,0x11,0x01,0xff]

v_lshl_or_b32_e64_dpp v5, v1, v2, v3 row_shr:15
// GFX11: v_lshl_or_b32_e64_dpp v5, v1, v2, v3 row_shr:15 row_mask:0xf bank_mask:0xf ; encoding: [0x05,0x00,0x56,0xd6,0xfa,0x04,0x0e,0x04,0x01,0x1f,0x01,0xff]

v_lshl_or_b32_e64_dpp v5, v1, v2, v3 row_xmask:0
// GFX11: v_lshl_or_b32_e64_dpp v5, v1, v2, v3 row_xmask:0 row_mask:0xf bank_mask:0xf ; encoding: [0x05,0x00,0x56,0xd6,0xfa,0x04,0x0e,0x04,0x01,0x60,0x01,0xff]

v_lshl_or_b32_e64_dpp v5, v1, v2, v3 row_xmask:15
// GFX11: v_lshl_or_b32_e64_dpp v5, v1, v2, v3 row_xmask:15 row_mask:0xf bank_mask:0xf ; encoding: [0x05,0x00,0x56,0xd6,0xfa,0x04,0x0e,0x04,0x01,0x6f,0x01,0xff]

v_lshl_or_b32_e64_dpp v5, v1, v2, v3 quad_perm:[3,2,1,0] fi:0
// GFX11: v_lshl_or_b32_e64_dpp v5, v1, v2, v3 quad_perm:[3,2,1,0] row_mask:0xf bank_mask:0xf ; encoding: [0x05,0x00,0x56,0xd6,0xfa,0x04,0x0e,0x04,0x01,0x1b,0x00,0xff]

v_lshl_or_b32_e64_dpp v5, v1, v2, v3 quad_perm:[3,2,1,0] fi:1
// GFX11: v_lshl_or_b32_e64_dpp v5, v1, v2, v3 quad_perm:[3,2,1,0] row_mask:0xf bank_mask:0xf fi:1 ; encoding: [0x05,0x00,0x56,0xd6,0xfa,0x04,0x0e,0x04,0x01,0x1b,0x04,0xff]

v_lshl_or_b32_e64_dpp v5, v1, v2, v3 quad_perm:[3,2,1,0] row_mask:0x0 bank_mask:0x1
// GFX11: v_lshl_or_b32_e64_dpp v5, v1, v2, v3 quad_perm:[3,2,1,0] row_mask:0x0 bank_mask:0x1 ; encoding: [0x05,0x00,0x56,0xd6,0xfa,0x04,0x0e,0x04,0x01,0x1b,0x00,0x01]

v_lshl_or_b32_e64_dpp v5, v1, v2, v3 quad_perm:[3,2,1,0] row_mask:0x3 bank_mask:0x0
// GFX11: v_lshl_or_b32_e64_dpp v5, v1, v2, v3 quad_perm:[3,2,1,0] row_mask:0x3 bank_mask:0x0 ; encoding: [0x05,0x00,0x56,0xd6,0xfa,0x04,0x0e,0x04,0x01,0x1b,0x00,0x30]
	;; [unrolled: 3-line block ×3, first 2 shown]

v_lshlrev_b16_e64_dpp v5.l, v1.l, v2.l quad_perm:[3,2,1,0]
// GFX11: v_lshlrev_b16_e64_dpp v5.l, v1.l, v2.l quad_perm:[3,2,1,0] row_mask:0xf bank_mask:0xf ; encoding: [0x05,0x00,0x38,0xd7,0xfa,0x04,0x02,0x00,0x01,0x1b,0x00,0xff]

v_lshlrev_b16_e64_dpp v255.l, v255.l, v255.l quad_perm:[3,2,1,0]
// GFX11: v_lshlrev_b16_e64_dpp v255.l, v255.l, v255.l quad_perm:[3,2,1,0] row_mask:0xf bank_mask:0xf ; encoding: [0xff,0x00,0x38,0xd7,0xfa,0xfe,0x03,0x00,0xff,0x1b,0x00,0xff]

v_lshlrev_b16_e64_dpp v5.l, v1.h, v2.l op_sel:[1,0,0] quad_perm:[3,2,1,0]
// GFX11: v_lshlrev_b16_e64_dpp v5.l, v1.h, v2.l op_sel:[1,0,0] quad_perm:[3,2,1,0] row_mask:0xf bank_mask:0xf ; encoding: [0x05,0x08,0x38,0xd7,0xfa,0x04,0x02,0x00,0x01,0x1b,0x00,0xff]

v_lshlrev_b16_e64_dpp v5.l, v1.l, v2.h op_sel:[0,1,0] quad_perm:[3,2,1,0]
// GFX11: v_lshlrev_b16_e64_dpp v5.l, v1.l, v2.h op_sel:[0,1,0] quad_perm:[3,2,1,0] row_mask:0xf bank_mask:0xf ; encoding: [0x05,0x10,0x38,0xd7,0xfa,0x04,0x02,0x00,0x01,0x1b,0x00,0xff]

v_lshlrev_b16_e64_dpp v5.l, v1.l, v2.l quad_perm:[3,2,1,0] bound_ctrl:0
// GFX11: v_lshlrev_b16_e64_dpp v5.l, v1.l, v2.l quad_perm:[3,2,1,0] row_mask:0xf bank_mask:0xf ; encoding: [0x05,0x00,0x38,0xd7,0xfa,0x04,0x02,0x00,0x01,0x1b,0x00,0xff]

v_lshlrev_b16_e64_dpp v5.l, v1.l, v2.l quad_perm:[3,2,1,0] bound_ctrl:1
// GFX11: v_lshlrev_b16_e64_dpp v5.l, v1.l, v2.l quad_perm:[3,2,1,0] row_mask:0xf bank_mask:0xf bound_ctrl:1 ; encoding: [0x05,0x00,0x38,0xd7,0xfa,0x04,0x02,0x00,0x01,0x1b,0x08,0xff]

v_lshlrev_b16_e64_dpp v5.l, v1.l, v2.l quad_perm:[0,1,2,3]
// GFX11: v_lshlrev_b16_e64_dpp v5.l, v1.l, v2.l quad_perm:[0,1,2,3] row_mask:0xf bank_mask:0xf ; encoding: [0x05,0x00,0x38,0xd7,0xfa,0x04,0x02,0x00,0x01,0xe4,0x00,0xff]

v_lshlrev_b16_e64_dpp v5.l, v1.l, v2.l row_half_mirror
// GFX11: v_lshlrev_b16_e64_dpp v5.l, v1.l, v2.l row_half_mirror row_mask:0xf bank_mask:0xf ; encoding: [0x05,0x00,0x38,0xd7,0xfa,0x04,0x02,0x00,0x01,0x41,0x01,0xff]

v_lshlrev_b16_e64_dpp v5.l, v1.l, v2.l row_mirror
// GFX11: v_lshlrev_b16_e64_dpp v5.l, v1.l, v2.l row_mirror row_mask:0xf bank_mask:0xf ; encoding: [0x05,0x00,0x38,0xd7,0xfa,0x04,0x02,0x00,0x01,0x40,0x01,0xff]

v_lshlrev_b16_e64_dpp v5.l, v1.l, v2.l row_ror:1
// GFX11: v_lshlrev_b16_e64_dpp v5.l, v1.l, v2.l row_ror:1 row_mask:0xf bank_mask:0xf ; encoding: [0x05,0x00,0x38,0xd7,0xfa,0x04,0x02,0x00,0x01,0x21,0x01,0xff]

v_lshlrev_b16_e64_dpp v5.l, v1.l, v2.l row_ror:15
// GFX11: v_lshlrev_b16_e64_dpp v5.l, v1.l, v2.l row_ror:15 row_mask:0xf bank_mask:0xf ; encoding: [0x05,0x00,0x38,0xd7,0xfa,0x04,0x02,0x00,0x01,0x2f,0x01,0xff]

v_lshlrev_b16_e64_dpp v5.l, v1.l, v2.l row_share:0
// GFX11: v_lshlrev_b16_e64_dpp v5.l, v1.l, v2.l row_share:0 row_mask:0xf bank_mask:0xf ; encoding: [0x05,0x00,0x38,0xd7,0xfa,0x04,0x02,0x00,0x01,0x50,0x01,0xff]

v_lshlrev_b16_e64_dpp v5.l, v1.l, v2.l row_share:15
// GFX11: v_lshlrev_b16_e64_dpp v5.l, v1.l, v2.l row_share:15 row_mask:0xf bank_mask:0xf ; encoding: [0x05,0x00,0x38,0xd7,0xfa,0x04,0x02,0x00,0x01,0x5f,0x01,0xff]

v_lshlrev_b16_e64_dpp v5.l, v1.l, v2.l row_shl:1
// GFX11: v_lshlrev_b16_e64_dpp v5.l, v1.l, v2.l row_shl:1 row_mask:0xf bank_mask:0xf ; encoding: [0x05,0x00,0x38,0xd7,0xfa,0x04,0x02,0x00,0x01,0x01,0x01,0xff]

v_lshlrev_b16_e64_dpp v5.l, v1.l, v2.l row_shl:15
// GFX11: v_lshlrev_b16_e64_dpp v5.l, v1.l, v2.l row_shl:15 row_mask:0xf bank_mask:0xf ; encoding: [0x05,0x00,0x38,0xd7,0xfa,0x04,0x02,0x00,0x01,0x0f,0x01,0xff]

v_lshlrev_b16_e64_dpp v5.l, v1.l, v2.l row_shr:1
// GFX11: v_lshlrev_b16_e64_dpp v5.l, v1.l, v2.l row_shr:1 row_mask:0xf bank_mask:0xf ; encoding: [0x05,0x00,0x38,0xd7,0xfa,0x04,0x02,0x00,0x01,0x11,0x01,0xff]

v_lshlrev_b16_e64_dpp v5.l, v1.l, v2.l row_shr:15
// GFX11: v_lshlrev_b16_e64_dpp v5.l, v1.l, v2.l row_shr:15 row_mask:0xf bank_mask:0xf ; encoding: [0x05,0x00,0x38,0xd7,0xfa,0x04,0x02,0x00,0x01,0x1f,0x01,0xff]

v_lshlrev_b16_e64_dpp v5.l, v1.l, v2.l row_xmask:0
// GFX11: v_lshlrev_b16_e64_dpp v5.l, v1.l, v2.l row_xmask:0 row_mask:0xf bank_mask:0xf ; encoding: [0x05,0x00,0x38,0xd7,0xfa,0x04,0x02,0x00,0x01,0x60,0x01,0xff]

v_lshlrev_b16_e64_dpp v5.l, v1.l, v2.l row_xmask:15
// GFX11: v_lshlrev_b16_e64_dpp v5.l, v1.l, v2.l row_xmask:15 row_mask:0xf bank_mask:0xf ; encoding: [0x05,0x00,0x38,0xd7,0xfa,0x04,0x02,0x00,0x01,0x6f,0x01,0xff]

v_lshlrev_b16_e64_dpp v5.l, v1.l, v2.l quad_perm:[3,2,1,0] fi:0
// GFX11: v_lshlrev_b16_e64_dpp v5.l, v1.l, v2.l quad_perm:[3,2,1,0] row_mask:0xf bank_mask:0xf ; encoding: [0x05,0x00,0x38,0xd7,0xfa,0x04,0x02,0x00,0x01,0x1b,0x00,0xff]

v_lshlrev_b16_e64_dpp v5.l, v1.l, v2.l quad_perm:[3,2,1,0] fi:1
// GFX11: v_lshlrev_b16_e64_dpp v5.l, v1.l, v2.l quad_perm:[3,2,1,0] row_mask:0xf bank_mask:0xf fi:1 ; encoding: [0x05,0x00,0x38,0xd7,0xfa,0x04,0x02,0x00,0x01,0x1b,0x04,0xff]

v_lshlrev_b16_e64_dpp v5.l, v1.l, v2.l quad_perm:[3,2,1,0] row_mask:0x0 bank_mask:0x1
// GFX11: v_lshlrev_b16_e64_dpp v5.l, v1.l, v2.l quad_perm:[3,2,1,0] row_mask:0x0 bank_mask:0x1 ; encoding: [0x05,0x00,0x38,0xd7,0xfa,0x04,0x02,0x00,0x01,0x1b,0x00,0x01]

v_lshlrev_b16_e64_dpp v5.l, v1.l, v2.l quad_perm:[3,2,1,0] row_mask:0x3 bank_mask:0x0
// GFX11: v_lshlrev_b16_e64_dpp v5.l, v1.l, v2.l quad_perm:[3,2,1,0] row_mask:0x3 bank_mask:0x0 ; encoding: [0x05,0x00,0x38,0xd7,0xfa,0x04,0x02,0x00,0x01,0x1b,0x00,0x30]
	;; [unrolled: 3-line block ×3, first 2 shown]

v_lshrrev_b16_e64_dpp v5.l, v1.l, v2.l quad_perm:[3,2,1,0]
// GFX11: v_lshrrev_b16_e64_dpp v5.l, v1.l, v2.l quad_perm:[3,2,1,0] row_mask:0xf bank_mask:0xf ; encoding: [0x05,0x00,0x39,0xd7,0xfa,0x04,0x02,0x00,0x01,0x1b,0x00,0xff]

v_lshrrev_b16_e64_dpp v255.l, v255.l, v255.l quad_perm:[3,2,1,0]
// GFX11: v_lshrrev_b16_e64_dpp v255.l, v255.l, v255.l quad_perm:[3,2,1,0] row_mask:0xf bank_mask:0xf ; encoding: [0xff,0x00,0x39,0xd7,0xfa,0xfe,0x03,0x00,0xff,0x1b,0x00,0xff]

v_lshrrev_b16_e64_dpp v5.l, v1.h, v2.l op_sel:[1,0,0] quad_perm:[3,2,1,0]
// GFX11: v_lshrrev_b16_e64_dpp v5.l, v1.h, v2.l op_sel:[1,0,0] quad_perm:[3,2,1,0] row_mask:0xf bank_mask:0xf ; encoding: [0x05,0x08,0x39,0xd7,0xfa,0x04,0x02,0x00,0x01,0x1b,0x00,0xff]

v_lshrrev_b16_e64_dpp v5.l, v1.l, v2.h op_sel:[0,1,0] quad_perm:[3,2,1,0]
// GFX11: v_lshrrev_b16_e64_dpp v5.l, v1.l, v2.h op_sel:[0,1,0] quad_perm:[3,2,1,0] row_mask:0xf bank_mask:0xf ; encoding: [0x05,0x10,0x39,0xd7,0xfa,0x04,0x02,0x00,0x01,0x1b,0x00,0xff]

v_lshrrev_b16_e64_dpp v5.l, v1.l, v2.l quad_perm:[3,2,1,0] bound_ctrl:0
// GFX11: v_lshrrev_b16_e64_dpp v5.l, v1.l, v2.l quad_perm:[3,2,1,0] row_mask:0xf bank_mask:0xf ; encoding: [0x05,0x00,0x39,0xd7,0xfa,0x04,0x02,0x00,0x01,0x1b,0x00,0xff]

v_lshrrev_b16_e64_dpp v5.l, v1.l, v2.l quad_perm:[3,2,1,0] bound_ctrl:1
// GFX11: v_lshrrev_b16_e64_dpp v5.l, v1.l, v2.l quad_perm:[3,2,1,0] row_mask:0xf bank_mask:0xf bound_ctrl:1 ; encoding: [0x05,0x00,0x39,0xd7,0xfa,0x04,0x02,0x00,0x01,0x1b,0x08,0xff]

v_lshrrev_b16_e64_dpp v5.l, v1.l, v2.l quad_perm:[0,1,2,3]
// GFX11: v_lshrrev_b16_e64_dpp v5.l, v1.l, v2.l quad_perm:[0,1,2,3] row_mask:0xf bank_mask:0xf ; encoding: [0x05,0x00,0x39,0xd7,0xfa,0x04,0x02,0x00,0x01,0xe4,0x00,0xff]

v_lshrrev_b16_e64_dpp v5.l, v1.l, v2.l row_half_mirror
// GFX11: v_lshrrev_b16_e64_dpp v5.l, v1.l, v2.l row_half_mirror row_mask:0xf bank_mask:0xf ; encoding: [0x05,0x00,0x39,0xd7,0xfa,0x04,0x02,0x00,0x01,0x41,0x01,0xff]

v_lshrrev_b16_e64_dpp v5.l, v1.l, v2.l row_mirror
// GFX11: v_lshrrev_b16_e64_dpp v5.l, v1.l, v2.l row_mirror row_mask:0xf bank_mask:0xf ; encoding: [0x05,0x00,0x39,0xd7,0xfa,0x04,0x02,0x00,0x01,0x40,0x01,0xff]

v_lshrrev_b16_e64_dpp v5.l, v1.l, v2.l row_ror:1
// GFX11: v_lshrrev_b16_e64_dpp v5.l, v1.l, v2.l row_ror:1 row_mask:0xf bank_mask:0xf ; encoding: [0x05,0x00,0x39,0xd7,0xfa,0x04,0x02,0x00,0x01,0x21,0x01,0xff]

v_lshrrev_b16_e64_dpp v5.l, v1.l, v2.l row_ror:15
// GFX11: v_lshrrev_b16_e64_dpp v5.l, v1.l, v2.l row_ror:15 row_mask:0xf bank_mask:0xf ; encoding: [0x05,0x00,0x39,0xd7,0xfa,0x04,0x02,0x00,0x01,0x2f,0x01,0xff]

v_lshrrev_b16_e64_dpp v5.l, v1.l, v2.l row_share:0
// GFX11: v_lshrrev_b16_e64_dpp v5.l, v1.l, v2.l row_share:0 row_mask:0xf bank_mask:0xf ; encoding: [0x05,0x00,0x39,0xd7,0xfa,0x04,0x02,0x00,0x01,0x50,0x01,0xff]

v_lshrrev_b16_e64_dpp v5.l, v1.l, v2.l row_share:15
// GFX11: v_lshrrev_b16_e64_dpp v5.l, v1.l, v2.l row_share:15 row_mask:0xf bank_mask:0xf ; encoding: [0x05,0x00,0x39,0xd7,0xfa,0x04,0x02,0x00,0x01,0x5f,0x01,0xff]

v_lshrrev_b16_e64_dpp v5.l, v1.l, v2.l row_shl:1
// GFX11: v_lshrrev_b16_e64_dpp v5.l, v1.l, v2.l row_shl:1 row_mask:0xf bank_mask:0xf ; encoding: [0x05,0x00,0x39,0xd7,0xfa,0x04,0x02,0x00,0x01,0x01,0x01,0xff]

v_lshrrev_b16_e64_dpp v5.l, v1.l, v2.l row_shl:15
// GFX11: v_lshrrev_b16_e64_dpp v5.l, v1.l, v2.l row_shl:15 row_mask:0xf bank_mask:0xf ; encoding: [0x05,0x00,0x39,0xd7,0xfa,0x04,0x02,0x00,0x01,0x0f,0x01,0xff]

v_lshrrev_b16_e64_dpp v5.l, v1.l, v2.l row_shr:1
// GFX11: v_lshrrev_b16_e64_dpp v5.l, v1.l, v2.l row_shr:1 row_mask:0xf bank_mask:0xf ; encoding: [0x05,0x00,0x39,0xd7,0xfa,0x04,0x02,0x00,0x01,0x11,0x01,0xff]

v_lshrrev_b16_e64_dpp v5.l, v1.l, v2.l row_shr:15
// GFX11: v_lshrrev_b16_e64_dpp v5.l, v1.l, v2.l row_shr:15 row_mask:0xf bank_mask:0xf ; encoding: [0x05,0x00,0x39,0xd7,0xfa,0x04,0x02,0x00,0x01,0x1f,0x01,0xff]

v_lshrrev_b16_e64_dpp v5.l, v1.l, v2.l row_xmask:0
// GFX11: v_lshrrev_b16_e64_dpp v5.l, v1.l, v2.l row_xmask:0 row_mask:0xf bank_mask:0xf ; encoding: [0x05,0x00,0x39,0xd7,0xfa,0x04,0x02,0x00,0x01,0x60,0x01,0xff]

v_lshrrev_b16_e64_dpp v5.l, v1.l, v2.l row_xmask:15
// GFX11: v_lshrrev_b16_e64_dpp v5.l, v1.l, v2.l row_xmask:15 row_mask:0xf bank_mask:0xf ; encoding: [0x05,0x00,0x39,0xd7,0xfa,0x04,0x02,0x00,0x01,0x6f,0x01,0xff]

v_lshrrev_b16_e64_dpp v5.l, v1.l, v2.l quad_perm:[3,2,1,0] fi:0
// GFX11: v_lshrrev_b16_e64_dpp v5.l, v1.l, v2.l quad_perm:[3,2,1,0] row_mask:0xf bank_mask:0xf ; encoding: [0x05,0x00,0x39,0xd7,0xfa,0x04,0x02,0x00,0x01,0x1b,0x00,0xff]

v_lshrrev_b16_e64_dpp v5.l, v1.l, v2.l quad_perm:[3,2,1,0] fi:1
// GFX11: v_lshrrev_b16_e64_dpp v5.l, v1.l, v2.l quad_perm:[3,2,1,0] row_mask:0xf bank_mask:0xf fi:1 ; encoding: [0x05,0x00,0x39,0xd7,0xfa,0x04,0x02,0x00,0x01,0x1b,0x04,0xff]

v_lshrrev_b16_e64_dpp v5.l, v1.l, v2.l quad_perm:[3,2,1,0] row_mask:0x0 bank_mask:0x1
// GFX11: v_lshrrev_b16_e64_dpp v5.l, v1.l, v2.l quad_perm:[3,2,1,0] row_mask:0x0 bank_mask:0x1 ; encoding: [0x05,0x00,0x39,0xd7,0xfa,0x04,0x02,0x00,0x01,0x1b,0x00,0x01]

v_lshrrev_b16_e64_dpp v5.l, v1.l, v2.l quad_perm:[3,2,1,0] row_mask:0x3 bank_mask:0x0
// GFX11: v_lshrrev_b16_e64_dpp v5.l, v1.l, v2.l quad_perm:[3,2,1,0] row_mask:0x3 bank_mask:0x0 ; encoding: [0x05,0x00,0x39,0xd7,0xfa,0x04,0x02,0x00,0x01,0x1b,0x00,0x30]

v_lshrrev_b16_e64_dpp v5.l, v1.l, v2.l quad_perm:[3,2,1,0] row_mask:0xf bank_mask:0xf
// GFX11: v_lshrrev_b16_e64_dpp v5.l, v1.l, v2.l quad_perm:[3,2,1,0] row_mask:0xf bank_mask:0xf ; encoding: [0x05,0x00,0x39,0xd7,0xfa,0x04,0x02,0x00,0x01,0x1b,0x00,0xff]

v_mad_i16_e64_dpp v5.l, v1.l, v2.l, v3.l quad_perm:[3,2,1,0]
// GFX11: v_mad_i16_e64_dpp v5.l, v1.l, v2.l, v3.l quad_perm:[3,2,1,0] row_mask:0xf bank_mask:0xf ; encoding: [0x05,0x00,0x53,0xd6,0xfa,0x04,0x0e,0x04,0x01,0x1b,0x00,0xff]

v_mad_i16_e64_dpp v255.l, v255.l, v255.l, v255.l quad_perm:[3,2,1,0]
// GFX11: v_mad_i16_e64_dpp v255.l, v255.l, v255.l, v255.l quad_perm:[3,2,1,0] row_mask:0xf bank_mask:0xf ; encoding: [0xff,0x00,0x53,0xd6,0xfa,0xfe,0xff,0x07,0xff,0x1b,0x00,0xff]

v_mad_i16_e64_dpp v5.l, v1.l, v2.l, -1 quad_perm:[3,2,1,0]
// GFX11: v_mad_i16_e64_dpp v5.l, v1.l, v2.l, -1 quad_perm:[3,2,1,0] row_mask:0xf bank_mask:0xf ; encoding: [0x05,0x00,0x53,0xd6,0xfa,0x04,0x06,0x03,0x01,0x1b,0x00,0xff]

v_mad_i16_e64_dpp v5.l, v1.l, v2.l, 0.5 quad_perm:[3,2,1,0]
// GFX11: v_mad_i16_e64_dpp v5.l, v1.l, v2.l, 0.5 quad_perm:[3,2,1,0] row_mask:0xf bank_mask:0xf ; encoding: [0x05,0x00,0x53,0xd6,0xfa,0x04,0xc2,0x03,0x01,0x1b,0x00,0xff]

v_mad_i16_e64_dpp v5.l, v1.l, v2.l, exec_hi quad_perm:[3,2,1,0]
// GFX11: v_mad_i16_e64_dpp v5.l, v1.l, v2.l, exec_hi quad_perm:[3,2,1,0] row_mask:0xf bank_mask:0xf ; encoding: [0x05,0x00,0x53,0xd6,0xfa,0x04,0xfe,0x01,0x01,0x1b,0x00,0xff]

v_mad_i16_e64_dpp v5.l, v1.l, v2.l, exec_lo quad_perm:[3,2,1,0]
// GFX11: v_mad_i16_e64_dpp v5.l, v1.l, v2.l, exec_lo quad_perm:[3,2,1,0] row_mask:0xf bank_mask:0xf ; encoding: [0x05,0x00,0x53,0xd6,0xfa,0x04,0xfa,0x01,0x01,0x1b,0x00,0xff]

v_mad_i16_e64_dpp v5.l, v1.l, v2.l, m0 quad_perm:[3,2,1,0]
// GFX11: v_mad_i16_e64_dpp v5.l, v1.l, v2.l, m0 quad_perm:[3,2,1,0] row_mask:0xf bank_mask:0xf ; encoding: [0x05,0x00,0x53,0xd6,0xfa,0x04,0xf6,0x01,0x01,0x1b,0x00,0xff]

v_mad_i16_e64_dpp v5.l, v1.l, v2.l, null quad_perm:[3,2,1,0]
// GFX11: v_mad_i16_e64_dpp v5.l, v1.l, v2.l, null quad_perm:[3,2,1,0] row_mask:0xf bank_mask:0xf ; encoding: [0x05,0x00,0x53,0xd6,0xfa,0x04,0xf2,0x01,0x01,0x1b,0x00,0xff]

v_mad_i16_e64_dpp v5.l, v1.l, v2.l, s105 quad_perm:[3,2,1,0]
// GFX11: v_mad_i16_e64_dpp v5.l, v1.l, v2.l, s105 quad_perm:[3,2,1,0] row_mask:0xf bank_mask:0xf ; encoding: [0x05,0x00,0x53,0xd6,0xfa,0x04,0xa6,0x01,0x01,0x1b,0x00,0xff]

v_mad_i16_e64_dpp v5.l, v1.l, v2.l, s3 quad_perm:[3,2,1,0]
// GFX11: v_mad_i16_e64_dpp v5.l, v1.l, v2.l, s3 quad_perm:[3,2,1,0] row_mask:0xf bank_mask:0xf ; encoding: [0x05,0x00,0x53,0xd6,0xfa,0x04,0x0e,0x00,0x01,0x1b,0x00,0xff]

v_mad_i16_e64_dpp v5.l, v1.l, v2.l, src_scc quad_perm:[3,2,1,0]
// GFX11: v_mad_i16_e64_dpp v5.l, v1.l, v2.l, src_scc quad_perm:[3,2,1,0] row_mask:0xf bank_mask:0xf ; encoding: [0x05,0x00,0x53,0xd6,0xfa,0x04,0xf6,0x03,0x01,0x1b,0x00,0xff]

v_mad_i16_e64_dpp v5.l, v1.l, v2.l, ttmp15 quad_perm:[3,2,1,0]
// GFX11: v_mad_i16_e64_dpp v5.l, v1.l, v2.l, ttmp15 quad_perm:[3,2,1,0] row_mask:0xf bank_mask:0xf ; encoding: [0x05,0x00,0x53,0xd6,0xfa,0x04,0xee,0x01,0x01,0x1b,0x00,0xff]

v_mad_i16_e64_dpp v5.l, v1.l, v2.l, v255.h quad_perm:[3,2,1,0]
// GFX11: v_mad_i16_e64_dpp v5.l, v1.l, v2.l, v255.h op_sel:[0,0,1,0] quad_perm:[3,2,1,0] row_mask:0xf bank_mask:0xf ; encoding: [0x05,0x20,0x53,0xd6,0xfa,0x04,0xfe,0x07,0x01,0x1b,0x00,0xff]

v_mad_i16_e64_dpp v5.l, v1.l, v2.l, v255.l quad_perm:[3,2,1,0]
// GFX11: v_mad_i16_e64_dpp v5.l, v1.l, v2.l, v255.l quad_perm:[3,2,1,0] row_mask:0xf bank_mask:0xf ; encoding: [0x05,0x00,0x53,0xd6,0xfa,0x04,0xfe,0x07,0x01,0x1b,0x00,0xff]

v_mad_i16_e64_dpp v5.l, v1.l, v2.l, v3.h quad_perm:[3,2,1,0]
// GFX11: v_mad_i16_e64_dpp v5.l, v1.l, v2.l, v3.h op_sel:[0,0,1,0] quad_perm:[3,2,1,0] row_mask:0xf bank_mask:0xf ; encoding: [0x05,0x20,0x53,0xd6,0xfa,0x04,0x0e,0x04,0x01,0x1b,0x00,0xff]

v_mad_i16_e64_dpp v5.l, v1.l, v2.l, vcc_hi quad_perm:[3,2,1,0]
// GFX11: v_mad_i16_e64_dpp v5.l, v1.l, v2.l, vcc_hi quad_perm:[3,2,1,0] row_mask:0xf bank_mask:0xf ; encoding: [0x05,0x00,0x53,0xd6,0xfa,0x04,0xae,0x01,0x01,0x1b,0x00,0xff]

v_mad_i16_e64_dpp v5.l, v1.l, v2.l, vcc_lo quad_perm:[3,2,1,0]
// GFX11: v_mad_i16_e64_dpp v5.l, v1.l, v2.l, vcc_lo quad_perm:[3,2,1,0] row_mask:0xf bank_mask:0xf ; encoding: [0x05,0x00,0x53,0xd6,0xfa,0x04,0xaa,0x01,0x01,0x1b,0x00,0xff]

v_mad_i16_e64_dpp v5.l, v1.h, v2.l, v3.l op_sel:[1,0,0,0] quad_perm:[3,2,1,0]
// GFX11: v_mad_i16_e64_dpp v5.l, v1.h, v2.l, v3.l op_sel:[1,0,0,0] quad_perm:[3,2,1,0] row_mask:0xf bank_mask:0xf ; encoding: [0x05,0x08,0x53,0xd6,0xfa,0x04,0x0e,0x04,0x01,0x1b,0x00,0xff]

v_mad_i16_e64_dpp v5.l, v1.l, v2.h, v3.l op_sel:[0,1,0,0] quad_perm:[3,2,1,0]
// GFX11: v_mad_i16_e64_dpp v5.l, v1.l, v2.h, v3.l op_sel:[0,1,0,0] quad_perm:[3,2,1,0] row_mask:0xf bank_mask:0xf ; encoding: [0x05,0x10,0x53,0xd6,0xfa,0x04,0x0e,0x04,0x01,0x1b,0x00,0xff]

v_mad_i16_e64_dpp v5.l, v1.l, v2.l, v3.h op_sel:[0,0,1,0] quad_perm:[3,2,1,0]
// GFX11: v_mad_i16_e64_dpp v5.l, v1.l, v2.l, v3.h op_sel:[0,0,1,0] quad_perm:[3,2,1,0] row_mask:0xf bank_mask:0xf ; encoding: [0x05,0x20,0x53,0xd6,0xfa,0x04,0x0e,0x04,0x01,0x1b,0x00,0xff]

v_mad_i16_e64_dpp v5.l, v1.l, v2.l, v3.l quad_perm:[3,2,1,0] bound_ctrl:0
// GFX11: v_mad_i16_e64_dpp v5.l, v1.l, v2.l, v3.l quad_perm:[3,2,1,0] row_mask:0xf bank_mask:0xf ; encoding: [0x05,0x00,0x53,0xd6,0xfa,0x04,0x0e,0x04,0x01,0x1b,0x00,0xff]

v_mad_i16_e64_dpp v5.l, v1.l, v2.l, v3.l quad_perm:[3,2,1,0] bound_ctrl:1
// GFX11: v_mad_i16_e64_dpp v5.l, v1.l, v2.l, v3.l quad_perm:[3,2,1,0] row_mask:0xf bank_mask:0xf bound_ctrl:1 ; encoding: [0x05,0x00,0x53,0xd6,0xfa,0x04,0x0e,0x04,0x01,0x1b,0x08,0xff]

v_mad_i16_e64_dpp v5.l, v1.l, v2.l, v3.l quad_perm:[0,1,2,3]
// GFX11: v_mad_i16_e64_dpp v5.l, v1.l, v2.l, v3.l quad_perm:[0,1,2,3] row_mask:0xf bank_mask:0xf ; encoding: [0x05,0x00,0x53,0xd6,0xfa,0x04,0x0e,0x04,0x01,0xe4,0x00,0xff]

v_mad_i16_e64_dpp v5.l, v1.l, v2.l, v3.l row_half_mirror
// GFX11: v_mad_i16_e64_dpp v5.l, v1.l, v2.l, v3.l row_half_mirror row_mask:0xf bank_mask:0xf ; encoding: [0x05,0x00,0x53,0xd6,0xfa,0x04,0x0e,0x04,0x01,0x41,0x01,0xff]

v_mad_i16_e64_dpp v5.l, v1.l, v2.l, v3.l row_mirror
// GFX11: v_mad_i16_e64_dpp v5.l, v1.l, v2.l, v3.l row_mirror row_mask:0xf bank_mask:0xf ; encoding: [0x05,0x00,0x53,0xd6,0xfa,0x04,0x0e,0x04,0x01,0x40,0x01,0xff]

v_mad_i16_e64_dpp v5.l, v1.l, v2.l, v3.l row_ror:1
// GFX11: v_mad_i16_e64_dpp v5.l, v1.l, v2.l, v3.l row_ror:1 row_mask:0xf bank_mask:0xf ; encoding: [0x05,0x00,0x53,0xd6,0xfa,0x04,0x0e,0x04,0x01,0x21,0x01,0xff]

v_mad_i16_e64_dpp v5.l, v1.l, v2.l, v3.l row_ror:15
// GFX11: v_mad_i16_e64_dpp v5.l, v1.l, v2.l, v3.l row_ror:15 row_mask:0xf bank_mask:0xf ; encoding: [0x05,0x00,0x53,0xd6,0xfa,0x04,0x0e,0x04,0x01,0x2f,0x01,0xff]

v_mad_i16_e64_dpp v5.l, v1.l, v2.l, v3.l row_share:0
// GFX11: v_mad_i16_e64_dpp v5.l, v1.l, v2.l, v3.l row_share:0 row_mask:0xf bank_mask:0xf ; encoding: [0x05,0x00,0x53,0xd6,0xfa,0x04,0x0e,0x04,0x01,0x50,0x01,0xff]

v_mad_i16_e64_dpp v5.l, v1.l, v2.l, v3.l row_share:15
// GFX11: v_mad_i16_e64_dpp v5.l, v1.l, v2.l, v3.l row_share:15 row_mask:0xf bank_mask:0xf ; encoding: [0x05,0x00,0x53,0xd6,0xfa,0x04,0x0e,0x04,0x01,0x5f,0x01,0xff]

v_mad_i16_e64_dpp v5.l, v1.l, v2.l, v3.l row_shl:1
// GFX11: v_mad_i16_e64_dpp v5.l, v1.l, v2.l, v3.l row_shl:1 row_mask:0xf bank_mask:0xf ; encoding: [0x05,0x00,0x53,0xd6,0xfa,0x04,0x0e,0x04,0x01,0x01,0x01,0xff]

v_mad_i16_e64_dpp v5.l, v1.l, v2.l, v3.l row_shl:15
// GFX11: v_mad_i16_e64_dpp v5.l, v1.l, v2.l, v3.l row_shl:15 row_mask:0xf bank_mask:0xf ; encoding: [0x05,0x00,0x53,0xd6,0xfa,0x04,0x0e,0x04,0x01,0x0f,0x01,0xff]

v_mad_i16_e64_dpp v5.l, v1.l, v2.l, v3.l row_shr:1
// GFX11: v_mad_i16_e64_dpp v5.l, v1.l, v2.l, v3.l row_shr:1 row_mask:0xf bank_mask:0xf ; encoding: [0x05,0x00,0x53,0xd6,0xfa,0x04,0x0e,0x04,0x01,0x11,0x01,0xff]

v_mad_i16_e64_dpp v5.l, v1.l, v2.l, v3.l row_shr:15
// GFX11: v_mad_i16_e64_dpp v5.l, v1.l, v2.l, v3.l row_shr:15 row_mask:0xf bank_mask:0xf ; encoding: [0x05,0x00,0x53,0xd6,0xfa,0x04,0x0e,0x04,0x01,0x1f,0x01,0xff]

v_mad_i16_e64_dpp v5.l, v1.l, v2.l, v3.l row_xmask:0
// GFX11: v_mad_i16_e64_dpp v5.l, v1.l, v2.l, v3.l row_xmask:0 row_mask:0xf bank_mask:0xf ; encoding: [0x05,0x00,0x53,0xd6,0xfa,0x04,0x0e,0x04,0x01,0x60,0x01,0xff]

v_mad_i16_e64_dpp v5.l, v1.l, v2.l, v3.l row_xmask:15
// GFX11: v_mad_i16_e64_dpp v5.l, v1.l, v2.l, v3.l row_xmask:15 row_mask:0xf bank_mask:0xf ; encoding: [0x05,0x00,0x53,0xd6,0xfa,0x04,0x0e,0x04,0x01,0x6f,0x01,0xff]

v_mad_i16_e64_dpp v5.l, v1.l, v2.l, v3.l quad_perm:[3,2,1,0] fi:0
// GFX11: v_mad_i16_e64_dpp v5.l, v1.l, v2.l, v3.l quad_perm:[3,2,1,0] row_mask:0xf bank_mask:0xf ; encoding: [0x05,0x00,0x53,0xd6,0xfa,0x04,0x0e,0x04,0x01,0x1b,0x00,0xff]

v_mad_i16_e64_dpp v5.l, v1.l, v2.l, v3.l quad_perm:[3,2,1,0] fi:1
// GFX11: v_mad_i16_e64_dpp v5.l, v1.l, v2.l, v3.l quad_perm:[3,2,1,0] row_mask:0xf bank_mask:0xf fi:1 ; encoding: [0x05,0x00,0x53,0xd6,0xfa,0x04,0x0e,0x04,0x01,0x1b,0x04,0xff]

v_mad_i16_e64_dpp v5.l, v1.l, v2.l, v3.l quad_perm:[3,2,1,0] row_mask:0x0 bank_mask:0x1
// GFX11: v_mad_i16_e64_dpp v5.l, v1.l, v2.l, v3.l quad_perm:[3,2,1,0] row_mask:0x0 bank_mask:0x1 ; encoding: [0x05,0x00,0x53,0xd6,0xfa,0x04,0x0e,0x04,0x01,0x1b,0x00,0x01]

v_mad_i16_e64_dpp v5.l, v1.l, v2.l, v3.l quad_perm:[3,2,1,0] row_mask:0x3 bank_mask:0x0
// GFX11: v_mad_i16_e64_dpp v5.l, v1.l, v2.l, v3.l quad_perm:[3,2,1,0] row_mask:0x3 bank_mask:0x0 ; encoding: [0x05,0x00,0x53,0xd6,0xfa,0x04,0x0e,0x04,0x01,0x1b,0x00,0x30]
	;; [unrolled: 3-line block ×3, first 2 shown]

v_mad_i16_e64_dpp v5.l, v1.l, v2.l, v3.l clamp quad_perm:[3,2,1,0]
// GFX11: v_mad_i16_e64_dpp v5.l, v1.l, v2.l, v3.l clamp quad_perm:[3,2,1,0] row_mask:0xf bank_mask:0xf ; encoding: [0x05,0x80,0x53,0xd6,0xfa,0x04,0x0e,0x04,0x01,0x1b,0x00,0xff]

v_mad_i32_i16_e64_dpp v5, v1.l, v2.l, v3 quad_perm:[3,2,1,0]
// GFX11: v_mad_i32_i16_e64_dpp v5, v1.l, v2.l, v3 quad_perm:[3,2,1,0] row_mask:0xf bank_mask:0xf ; encoding: [0x05,0x00,0x5a,0xd6,0xfa,0x04,0x0e,0x04,0x01,0x1b,0x00,0xff]

v_mad_i32_i16_e64_dpp v255, v255.l, v255.l, v255 quad_perm:[3,2,1,0]
// GFX11: v_mad_i32_i16_e64_dpp v255, v255.l, v255.l, v255 quad_perm:[3,2,1,0] row_mask:0xf bank_mask:0xf ; encoding: [0xff,0x00,0x5a,0xd6,0xfa,0xfe,0xff,0x07,0xff,0x1b,0x00,0xff]

v_mad_i32_i16_e64_dpp v5, v1.l, v2.l, -1 quad_perm:[3,2,1,0]
// GFX11: v_mad_i32_i16_e64_dpp v5, v1.l, v2.l, -1 quad_perm:[3,2,1,0] row_mask:0xf bank_mask:0xf ; encoding: [0x05,0x00,0x5a,0xd6,0xfa,0x04,0x06,0x03,0x01,0x1b,0x00,0xff]

v_mad_i32_i16_e64_dpp v5, v1.l, v2.l, 0.5 quad_perm:[3,2,1,0]
// GFX11: v_mad_i32_i16_e64_dpp v5, v1.l, v2.l, 0.5 quad_perm:[3,2,1,0] row_mask:0xf bank_mask:0xf ; encoding: [0x05,0x00,0x5a,0xd6,0xfa,0x04,0xc2,0x03,0x01,0x1b,0x00,0xff]

v_mad_i32_i16_e64_dpp v5, v1.l, v2.l, exec_hi quad_perm:[3,2,1,0]
// GFX11: v_mad_i32_i16_e64_dpp v5, v1.l, v2.l, exec_hi quad_perm:[3,2,1,0] row_mask:0xf bank_mask:0xf ; encoding: [0x05,0x00,0x5a,0xd6,0xfa,0x04,0xfe,0x01,0x01,0x1b,0x00,0xff]

v_mad_i32_i16_e64_dpp v5, v1.l, v2.l, exec_lo quad_perm:[3,2,1,0]
// GFX11: v_mad_i32_i16_e64_dpp v5, v1.l, v2.l, exec_lo quad_perm:[3,2,1,0] row_mask:0xf bank_mask:0xf ; encoding: [0x05,0x00,0x5a,0xd6,0xfa,0x04,0xfa,0x01,0x01,0x1b,0x00,0xff]

v_mad_i32_i16_e64_dpp v5, v1.l, v2.l, m0 quad_perm:[3,2,1,0]
// GFX11: v_mad_i32_i16_e64_dpp v5, v1.l, v2.l, m0 quad_perm:[3,2,1,0] row_mask:0xf bank_mask:0xf ; encoding: [0x05,0x00,0x5a,0xd6,0xfa,0x04,0xf6,0x01,0x01,0x1b,0x00,0xff]

v_mad_i32_i16_e64_dpp v5, v1.l, v2.l, null quad_perm:[3,2,1,0]
// GFX11: v_mad_i32_i16_e64_dpp v5, v1.l, v2.l, null quad_perm:[3,2,1,0] row_mask:0xf bank_mask:0xf ; encoding: [0x05,0x00,0x5a,0xd6,0xfa,0x04,0xf2,0x01,0x01,0x1b,0x00,0xff]

v_mad_i32_i16_e64_dpp v5, v1.l, v2.l, s105 quad_perm:[3,2,1,0]
// GFX11: v_mad_i32_i16_e64_dpp v5, v1.l, v2.l, s105 quad_perm:[3,2,1,0] row_mask:0xf bank_mask:0xf ; encoding: [0x05,0x00,0x5a,0xd6,0xfa,0x04,0xa6,0x01,0x01,0x1b,0x00,0xff]

v_mad_i32_i16_e64_dpp v5, v1.l, v2.l, s3 quad_perm:[3,2,1,0]
// GFX11: v_mad_i32_i16_e64_dpp v5, v1.l, v2.l, s3 quad_perm:[3,2,1,0] row_mask:0xf bank_mask:0xf ; encoding: [0x05,0x00,0x5a,0xd6,0xfa,0x04,0x0e,0x00,0x01,0x1b,0x00,0xff]

v_mad_i32_i16_e64_dpp v5, v1.l, v2.l, src_scc quad_perm:[3,2,1,0]
// GFX11: v_mad_i32_i16_e64_dpp v5, v1.l, v2.l, src_scc quad_perm:[3,2,1,0] row_mask:0xf bank_mask:0xf ; encoding: [0x05,0x00,0x5a,0xd6,0xfa,0x04,0xf6,0x03,0x01,0x1b,0x00,0xff]

v_mad_i32_i16_e64_dpp v5, v1.l, v2.l, ttmp15 quad_perm:[3,2,1,0]
// GFX11: v_mad_i32_i16_e64_dpp v5, v1.l, v2.l, ttmp15 quad_perm:[3,2,1,0] row_mask:0xf bank_mask:0xf ; encoding: [0x05,0x00,0x5a,0xd6,0xfa,0x04,0xee,0x01,0x01,0x1b,0x00,0xff]

v_mad_i32_i16_e64_dpp v5, v1.l, v2.l, v255 quad_perm:[3,2,1,0]
// GFX11: v_mad_i32_i16_e64_dpp v5, v1.l, v2.l, v255 quad_perm:[3,2,1,0] row_mask:0xf bank_mask:0xf ; encoding: [0x05,0x00,0x5a,0xd6,0xfa,0x04,0xfe,0x07,0x01,0x1b,0x00,0xff]

v_mad_i32_i16_e64_dpp v5, v1.l, v2.l, vcc_hi quad_perm:[3,2,1,0]
// GFX11: v_mad_i32_i16_e64_dpp v5, v1.l, v2.l, vcc_hi quad_perm:[3,2,1,0] row_mask:0xf bank_mask:0xf ; encoding: [0x05,0x00,0x5a,0xd6,0xfa,0x04,0xae,0x01,0x01,0x1b,0x00,0xff]

v_mad_i32_i16_e64_dpp v5, v1.l, v2.l, vcc_lo quad_perm:[3,2,1,0]
// GFX11: v_mad_i32_i16_e64_dpp v5, v1.l, v2.l, vcc_lo quad_perm:[3,2,1,0] row_mask:0xf bank_mask:0xf ; encoding: [0x05,0x00,0x5a,0xd6,0xfa,0x04,0xaa,0x01,0x01,0x1b,0x00,0xff]

v_mad_i32_i16_e64_dpp v5, v1.h, v2.l, v3 op_sel:[1,0,0,0] quad_perm:[3,2,1,0]
// GFX11: v_mad_i32_i16_e64_dpp v5, v1.h, v2.l, v3 op_sel:[1,0,0,0] quad_perm:[3,2,1,0] row_mask:0xf bank_mask:0xf ; encoding: [0x05,0x08,0x5a,0xd6,0xfa,0x04,0x0e,0x04,0x01,0x1b,0x00,0xff]

v_mad_i32_i16_e64_dpp v5, v1.l, v2.h, v3 op_sel:[0,1,0,0] quad_perm:[3,2,1,0]
// GFX11: v_mad_i32_i16_e64_dpp v5, v1.l, v2.h, v3 op_sel:[0,1,0,0] quad_perm:[3,2,1,0] row_mask:0xf bank_mask:0xf ; encoding: [0x05,0x10,0x5a,0xd6,0xfa,0x04,0x0e,0x04,0x01,0x1b,0x00,0xff]

v_mad_i32_i16_e64_dpp v5, v1.l, v2.l, v3 quad_perm:[3,2,1,0] bound_ctrl:0
// GFX11: v_mad_i32_i16_e64_dpp v5, v1.l, v2.l, v3 quad_perm:[3,2,1,0] row_mask:0xf bank_mask:0xf ; encoding: [0x05,0x00,0x5a,0xd6,0xfa,0x04,0x0e,0x04,0x01,0x1b,0x00,0xff]

v_mad_i32_i16_e64_dpp v5, v1.l, v2.l, v3 quad_perm:[3,2,1,0] bound_ctrl:1
// GFX11: v_mad_i32_i16_e64_dpp v5, v1.l, v2.l, v3 quad_perm:[3,2,1,0] row_mask:0xf bank_mask:0xf bound_ctrl:1 ; encoding: [0x05,0x00,0x5a,0xd6,0xfa,0x04,0x0e,0x04,0x01,0x1b,0x08,0xff]

v_mad_i32_i16_e64_dpp v5, v1.l, v2.l, v3 quad_perm:[0,1,2,3]
// GFX11: v_mad_i32_i16_e64_dpp v5, v1.l, v2.l, v3 quad_perm:[0,1,2,3] row_mask:0xf bank_mask:0xf ; encoding: [0x05,0x00,0x5a,0xd6,0xfa,0x04,0x0e,0x04,0x01,0xe4,0x00,0xff]

v_mad_i32_i16_e64_dpp v5, v1.l, v2.l, v3 row_half_mirror
// GFX11: v_mad_i32_i16_e64_dpp v5, v1.l, v2.l, v3 row_half_mirror row_mask:0xf bank_mask:0xf ; encoding: [0x05,0x00,0x5a,0xd6,0xfa,0x04,0x0e,0x04,0x01,0x41,0x01,0xff]

v_mad_i32_i16_e64_dpp v5, v1.l, v2.l, v3 row_mirror
// GFX11: v_mad_i32_i16_e64_dpp v5, v1.l, v2.l, v3 row_mirror row_mask:0xf bank_mask:0xf ; encoding: [0x05,0x00,0x5a,0xd6,0xfa,0x04,0x0e,0x04,0x01,0x40,0x01,0xff]

v_mad_i32_i16_e64_dpp v5, v1.l, v2.l, v3 row_ror:1
// GFX11: v_mad_i32_i16_e64_dpp v5, v1.l, v2.l, v3 row_ror:1 row_mask:0xf bank_mask:0xf ; encoding: [0x05,0x00,0x5a,0xd6,0xfa,0x04,0x0e,0x04,0x01,0x21,0x01,0xff]

v_mad_i32_i16_e64_dpp v5, v1.l, v2.l, v3 row_ror:15
// GFX11: v_mad_i32_i16_e64_dpp v5, v1.l, v2.l, v3 row_ror:15 row_mask:0xf bank_mask:0xf ; encoding: [0x05,0x00,0x5a,0xd6,0xfa,0x04,0x0e,0x04,0x01,0x2f,0x01,0xff]

v_mad_i32_i16_e64_dpp v5, v1.l, v2.l, v3 row_share:0
// GFX11: v_mad_i32_i16_e64_dpp v5, v1.l, v2.l, v3 row_share:0 row_mask:0xf bank_mask:0xf ; encoding: [0x05,0x00,0x5a,0xd6,0xfa,0x04,0x0e,0x04,0x01,0x50,0x01,0xff]

v_mad_i32_i16_e64_dpp v5, v1.l, v2.l, v3 row_share:15
// GFX11: v_mad_i32_i16_e64_dpp v5, v1.l, v2.l, v3 row_share:15 row_mask:0xf bank_mask:0xf ; encoding: [0x05,0x00,0x5a,0xd6,0xfa,0x04,0x0e,0x04,0x01,0x5f,0x01,0xff]

v_mad_i32_i16_e64_dpp v5, v1.l, v2.l, v3 row_shl:1
// GFX11: v_mad_i32_i16_e64_dpp v5, v1.l, v2.l, v3 row_shl:1 row_mask:0xf bank_mask:0xf ; encoding: [0x05,0x00,0x5a,0xd6,0xfa,0x04,0x0e,0x04,0x01,0x01,0x01,0xff]

v_mad_i32_i16_e64_dpp v5, v1.l, v2.l, v3 row_shl:15
// GFX11: v_mad_i32_i16_e64_dpp v5, v1.l, v2.l, v3 row_shl:15 row_mask:0xf bank_mask:0xf ; encoding: [0x05,0x00,0x5a,0xd6,0xfa,0x04,0x0e,0x04,0x01,0x0f,0x01,0xff]

v_mad_i32_i16_e64_dpp v5, v1.l, v2.l, v3 row_shr:1
// GFX11: v_mad_i32_i16_e64_dpp v5, v1.l, v2.l, v3 row_shr:1 row_mask:0xf bank_mask:0xf ; encoding: [0x05,0x00,0x5a,0xd6,0xfa,0x04,0x0e,0x04,0x01,0x11,0x01,0xff]

v_mad_i32_i16_e64_dpp v5, v1.l, v2.l, v3 row_shr:15
// GFX11: v_mad_i32_i16_e64_dpp v5, v1.l, v2.l, v3 row_shr:15 row_mask:0xf bank_mask:0xf ; encoding: [0x05,0x00,0x5a,0xd6,0xfa,0x04,0x0e,0x04,0x01,0x1f,0x01,0xff]

v_mad_i32_i16_e64_dpp v5, v1.l, v2.l, v3 row_xmask:0
// GFX11: v_mad_i32_i16_e64_dpp v5, v1.l, v2.l, v3 row_xmask:0 row_mask:0xf bank_mask:0xf ; encoding: [0x05,0x00,0x5a,0xd6,0xfa,0x04,0x0e,0x04,0x01,0x60,0x01,0xff]

v_mad_i32_i16_e64_dpp v5, v1.l, v2.l, v3 row_xmask:15
// GFX11: v_mad_i32_i16_e64_dpp v5, v1.l, v2.l, v3 row_xmask:15 row_mask:0xf bank_mask:0xf ; encoding: [0x05,0x00,0x5a,0xd6,0xfa,0x04,0x0e,0x04,0x01,0x6f,0x01,0xff]

v_mad_i32_i16_e64_dpp v5, v1.l, v2.l, v3 quad_perm:[3,2,1,0] fi:0
// GFX11: v_mad_i32_i16_e64_dpp v5, v1.l, v2.l, v3 quad_perm:[3,2,1,0] row_mask:0xf bank_mask:0xf ; encoding: [0x05,0x00,0x5a,0xd6,0xfa,0x04,0x0e,0x04,0x01,0x1b,0x00,0xff]

v_mad_i32_i16_e64_dpp v5, v1.l, v2.l, v3 quad_perm:[3,2,1,0] fi:1
// GFX11: v_mad_i32_i16_e64_dpp v5, v1.l, v2.l, v3 quad_perm:[3,2,1,0] row_mask:0xf bank_mask:0xf fi:1 ; encoding: [0x05,0x00,0x5a,0xd6,0xfa,0x04,0x0e,0x04,0x01,0x1b,0x04,0xff]

v_mad_i32_i16_e64_dpp v5, v1.l, v2.l, v3 quad_perm:[3,2,1,0] row_mask:0x0 bank_mask:0x1
// GFX11: v_mad_i32_i16_e64_dpp v5, v1.l, v2.l, v3 quad_perm:[3,2,1,0] row_mask:0x0 bank_mask:0x1 ; encoding: [0x05,0x00,0x5a,0xd6,0xfa,0x04,0x0e,0x04,0x01,0x1b,0x00,0x01]

v_mad_i32_i16_e64_dpp v5, v1.l, v2.l, v3 quad_perm:[3,2,1,0] row_mask:0x3 bank_mask:0x0
// GFX11: v_mad_i32_i16_e64_dpp v5, v1.l, v2.l, v3 quad_perm:[3,2,1,0] row_mask:0x3 bank_mask:0x0 ; encoding: [0x05,0x00,0x5a,0xd6,0xfa,0x04,0x0e,0x04,0x01,0x1b,0x00,0x30]
	;; [unrolled: 3-line block ×3, first 2 shown]

v_mad_i32_i16_e64_dpp v5, v1.l, v2.l, v3 clamp quad_perm:[3,2,1,0]
// GFX11: v_mad_i32_i16_e64_dpp v5, v1.l, v2.l, v3 clamp quad_perm:[3,2,1,0] row_mask:0xf bank_mask:0xf ; encoding: [0x05,0x80,0x5a,0xd6,0xfa,0x04,0x0e,0x04,0x01,0x1b,0x00,0xff]

v_mad_i32_i24_e64_dpp v5, v1, v2, v3 quad_perm:[3,2,1,0]
// GFX11: v_mad_i32_i24_e64_dpp v5, v1, v2, v3 quad_perm:[3,2,1,0] row_mask:0xf bank_mask:0xf ; encoding: [0x05,0x00,0x0a,0xd6,0xfa,0x04,0x0e,0x04,0x01,0x1b,0x00,0xff]

v_mad_i32_i24_e64_dpp v255, v255, v255, v255 quad_perm:[3,2,1,0]
// GFX11: v_mad_i32_i24_e64_dpp v255, v255, v255, v255 quad_perm:[3,2,1,0] row_mask:0xf bank_mask:0xf ; encoding: [0xff,0x00,0x0a,0xd6,0xfa,0xfe,0xff,0x07,0xff,0x1b,0x00,0xff]

v_mad_i32_i24_e64_dpp v5, v1, v2, -1 quad_perm:[3,2,1,0]
// GFX11: v_mad_i32_i24_e64_dpp v5, v1, v2, -1 quad_perm:[3,2,1,0] row_mask:0xf bank_mask:0xf ; encoding: [0x05,0x00,0x0a,0xd6,0xfa,0x04,0x06,0x03,0x01,0x1b,0x00,0xff]

v_mad_i32_i24_e64_dpp v5, v1, v2, 0.5 quad_perm:[3,2,1,0]
// GFX11: v_mad_i32_i24_e64_dpp v5, v1, v2, 0.5 quad_perm:[3,2,1,0] row_mask:0xf bank_mask:0xf ; encoding: [0x05,0x00,0x0a,0xd6,0xfa,0x04,0xc2,0x03,0x01,0x1b,0x00,0xff]

v_mad_i32_i24_e64_dpp v5, v1, v2, exec_hi quad_perm:[3,2,1,0]
// GFX11: v_mad_i32_i24_e64_dpp v5, v1, v2, exec_hi quad_perm:[3,2,1,0] row_mask:0xf bank_mask:0xf ; encoding: [0x05,0x00,0x0a,0xd6,0xfa,0x04,0xfe,0x01,0x01,0x1b,0x00,0xff]

v_mad_i32_i24_e64_dpp v5, v1, v2, exec_lo quad_perm:[3,2,1,0]
// GFX11: v_mad_i32_i24_e64_dpp v5, v1, v2, exec_lo quad_perm:[3,2,1,0] row_mask:0xf bank_mask:0xf ; encoding: [0x05,0x00,0x0a,0xd6,0xfa,0x04,0xfa,0x01,0x01,0x1b,0x00,0xff]

v_mad_i32_i24_e64_dpp v5, v1, v2, m0 quad_perm:[3,2,1,0]
// GFX11: v_mad_i32_i24_e64_dpp v5, v1, v2, m0 quad_perm:[3,2,1,0] row_mask:0xf bank_mask:0xf ; encoding: [0x05,0x00,0x0a,0xd6,0xfa,0x04,0xf6,0x01,0x01,0x1b,0x00,0xff]

v_mad_i32_i24_e64_dpp v5, v1, v2, null quad_perm:[3,2,1,0]
// GFX11: v_mad_i32_i24_e64_dpp v5, v1, v2, null quad_perm:[3,2,1,0] row_mask:0xf bank_mask:0xf ; encoding: [0x05,0x00,0x0a,0xd6,0xfa,0x04,0xf2,0x01,0x01,0x1b,0x00,0xff]

v_mad_i32_i24_e64_dpp v5, v1, v2, s105 quad_perm:[3,2,1,0]
// GFX11: v_mad_i32_i24_e64_dpp v5, v1, v2, s105 quad_perm:[3,2,1,0] row_mask:0xf bank_mask:0xf ; encoding: [0x05,0x00,0x0a,0xd6,0xfa,0x04,0xa6,0x01,0x01,0x1b,0x00,0xff]

v_mad_i32_i24_e64_dpp v5, v1, v2, s3 quad_perm:[3,2,1,0]
// GFX11: v_mad_i32_i24_e64_dpp v5, v1, v2, s3 quad_perm:[3,2,1,0] row_mask:0xf bank_mask:0xf ; encoding: [0x05,0x00,0x0a,0xd6,0xfa,0x04,0x0e,0x00,0x01,0x1b,0x00,0xff]

v_mad_i32_i24_e64_dpp v5, v1, v2, src_scc quad_perm:[3,2,1,0]
// GFX11: v_mad_i32_i24_e64_dpp v5, v1, v2, src_scc quad_perm:[3,2,1,0] row_mask:0xf bank_mask:0xf ; encoding: [0x05,0x00,0x0a,0xd6,0xfa,0x04,0xf6,0x03,0x01,0x1b,0x00,0xff]

v_mad_i32_i24_e64_dpp v5, v1, v2, ttmp15 quad_perm:[3,2,1,0]
// GFX11: v_mad_i32_i24_e64_dpp v5, v1, v2, ttmp15 quad_perm:[3,2,1,0] row_mask:0xf bank_mask:0xf ; encoding: [0x05,0x00,0x0a,0xd6,0xfa,0x04,0xee,0x01,0x01,0x1b,0x00,0xff]

v_mad_i32_i24_e64_dpp v5, v1, v2, v255 quad_perm:[3,2,1,0]
// GFX11: v_mad_i32_i24_e64_dpp v5, v1, v2, v255 quad_perm:[3,2,1,0] row_mask:0xf bank_mask:0xf ; encoding: [0x05,0x00,0x0a,0xd6,0xfa,0x04,0xfe,0x07,0x01,0x1b,0x00,0xff]

v_mad_i32_i24_e64_dpp v5, v1, v2, vcc_hi quad_perm:[3,2,1,0]
// GFX11: v_mad_i32_i24_e64_dpp v5, v1, v2, vcc_hi quad_perm:[3,2,1,0] row_mask:0xf bank_mask:0xf ; encoding: [0x05,0x00,0x0a,0xd6,0xfa,0x04,0xae,0x01,0x01,0x1b,0x00,0xff]

v_mad_i32_i24_e64_dpp v5, v1, v2, vcc_lo quad_perm:[3,2,1,0]
// GFX11: v_mad_i32_i24_e64_dpp v5, v1, v2, vcc_lo quad_perm:[3,2,1,0] row_mask:0xf bank_mask:0xf ; encoding: [0x05,0x00,0x0a,0xd6,0xfa,0x04,0xaa,0x01,0x01,0x1b,0x00,0xff]

v_mad_i32_i24_e64_dpp v5, v1, v2, v3 quad_perm:[3,2,1,0] bound_ctrl:0
// GFX11: v_mad_i32_i24_e64_dpp v5, v1, v2, v3 quad_perm:[3,2,1,0] row_mask:0xf bank_mask:0xf ; encoding: [0x05,0x00,0x0a,0xd6,0xfa,0x04,0x0e,0x04,0x01,0x1b,0x00,0xff]

v_mad_i32_i24_e64_dpp v5, v1, v2, v3 quad_perm:[3,2,1,0] bound_ctrl:1
// GFX11: v_mad_i32_i24_e64_dpp v5, v1, v2, v3 quad_perm:[3,2,1,0] row_mask:0xf bank_mask:0xf bound_ctrl:1 ; encoding: [0x05,0x00,0x0a,0xd6,0xfa,0x04,0x0e,0x04,0x01,0x1b,0x08,0xff]

v_mad_i32_i24_e64_dpp v5, v1, v2, v3 quad_perm:[0,1,2,3]
// GFX11: v_mad_i32_i24_e64_dpp v5, v1, v2, v3 quad_perm:[0,1,2,3] row_mask:0xf bank_mask:0xf ; encoding: [0x05,0x00,0x0a,0xd6,0xfa,0x04,0x0e,0x04,0x01,0xe4,0x00,0xff]

v_mad_i32_i24_e64_dpp v5, v1, v2, v3 row_half_mirror
// GFX11: v_mad_i32_i24_e64_dpp v5, v1, v2, v3 row_half_mirror row_mask:0xf bank_mask:0xf ; encoding: [0x05,0x00,0x0a,0xd6,0xfa,0x04,0x0e,0x04,0x01,0x41,0x01,0xff]

v_mad_i32_i24_e64_dpp v5, v1, v2, v3 row_mirror
// GFX11: v_mad_i32_i24_e64_dpp v5, v1, v2, v3 row_mirror row_mask:0xf bank_mask:0xf ; encoding: [0x05,0x00,0x0a,0xd6,0xfa,0x04,0x0e,0x04,0x01,0x40,0x01,0xff]

v_mad_i32_i24_e64_dpp v5, v1, v2, v3 row_ror:1
// GFX11: v_mad_i32_i24_e64_dpp v5, v1, v2, v3 row_ror:1 row_mask:0xf bank_mask:0xf ; encoding: [0x05,0x00,0x0a,0xd6,0xfa,0x04,0x0e,0x04,0x01,0x21,0x01,0xff]

v_mad_i32_i24_e64_dpp v5, v1, v2, v3 row_ror:15
// GFX11: v_mad_i32_i24_e64_dpp v5, v1, v2, v3 row_ror:15 row_mask:0xf bank_mask:0xf ; encoding: [0x05,0x00,0x0a,0xd6,0xfa,0x04,0x0e,0x04,0x01,0x2f,0x01,0xff]

v_mad_i32_i24_e64_dpp v5, v1, v2, v3 row_share:0
// GFX11: v_mad_i32_i24_e64_dpp v5, v1, v2, v3 row_share:0 row_mask:0xf bank_mask:0xf ; encoding: [0x05,0x00,0x0a,0xd6,0xfa,0x04,0x0e,0x04,0x01,0x50,0x01,0xff]

v_mad_i32_i24_e64_dpp v5, v1, v2, v3 row_share:15
// GFX11: v_mad_i32_i24_e64_dpp v5, v1, v2, v3 row_share:15 row_mask:0xf bank_mask:0xf ; encoding: [0x05,0x00,0x0a,0xd6,0xfa,0x04,0x0e,0x04,0x01,0x5f,0x01,0xff]

v_mad_i32_i24_e64_dpp v5, v1, v2, v3 row_shl:1
// GFX11: v_mad_i32_i24_e64_dpp v5, v1, v2, v3 row_shl:1 row_mask:0xf bank_mask:0xf ; encoding: [0x05,0x00,0x0a,0xd6,0xfa,0x04,0x0e,0x04,0x01,0x01,0x01,0xff]

v_mad_i32_i24_e64_dpp v5, v1, v2, v3 row_shl:15
// GFX11: v_mad_i32_i24_e64_dpp v5, v1, v2, v3 row_shl:15 row_mask:0xf bank_mask:0xf ; encoding: [0x05,0x00,0x0a,0xd6,0xfa,0x04,0x0e,0x04,0x01,0x0f,0x01,0xff]

v_mad_i32_i24_e64_dpp v5, v1, v2, v3 row_shr:1
// GFX11: v_mad_i32_i24_e64_dpp v5, v1, v2, v3 row_shr:1 row_mask:0xf bank_mask:0xf ; encoding: [0x05,0x00,0x0a,0xd6,0xfa,0x04,0x0e,0x04,0x01,0x11,0x01,0xff]

v_mad_i32_i24_e64_dpp v5, v1, v2, v3 row_shr:15
// GFX11: v_mad_i32_i24_e64_dpp v5, v1, v2, v3 row_shr:15 row_mask:0xf bank_mask:0xf ; encoding: [0x05,0x00,0x0a,0xd6,0xfa,0x04,0x0e,0x04,0x01,0x1f,0x01,0xff]

v_mad_i32_i24_e64_dpp v5, v1, v2, v3 row_xmask:0
// GFX11: v_mad_i32_i24_e64_dpp v5, v1, v2, v3 row_xmask:0 row_mask:0xf bank_mask:0xf ; encoding: [0x05,0x00,0x0a,0xd6,0xfa,0x04,0x0e,0x04,0x01,0x60,0x01,0xff]

v_mad_i32_i24_e64_dpp v5, v1, v2, v3 row_xmask:15
// GFX11: v_mad_i32_i24_e64_dpp v5, v1, v2, v3 row_xmask:15 row_mask:0xf bank_mask:0xf ; encoding: [0x05,0x00,0x0a,0xd6,0xfa,0x04,0x0e,0x04,0x01,0x6f,0x01,0xff]

v_mad_i32_i24_e64_dpp v5, v1, v2, v3 quad_perm:[3,2,1,0] fi:0
// GFX11: v_mad_i32_i24_e64_dpp v5, v1, v2, v3 quad_perm:[3,2,1,0] row_mask:0xf bank_mask:0xf ; encoding: [0x05,0x00,0x0a,0xd6,0xfa,0x04,0x0e,0x04,0x01,0x1b,0x00,0xff]

v_mad_i32_i24_e64_dpp v5, v1, v2, v3 quad_perm:[3,2,1,0] fi:1
// GFX11: v_mad_i32_i24_e64_dpp v5, v1, v2, v3 quad_perm:[3,2,1,0] row_mask:0xf bank_mask:0xf fi:1 ; encoding: [0x05,0x00,0x0a,0xd6,0xfa,0x04,0x0e,0x04,0x01,0x1b,0x04,0xff]

v_mad_i32_i24_e64_dpp v5, v1, v2, v3 quad_perm:[3,2,1,0] row_mask:0x0 bank_mask:0x1
// GFX11: v_mad_i32_i24_e64_dpp v5, v1, v2, v3 quad_perm:[3,2,1,0] row_mask:0x0 bank_mask:0x1 ; encoding: [0x05,0x00,0x0a,0xd6,0xfa,0x04,0x0e,0x04,0x01,0x1b,0x00,0x01]

v_mad_i32_i24_e64_dpp v5, v1, v2, v3 quad_perm:[3,2,1,0] row_mask:0x3 bank_mask:0x0
// GFX11: v_mad_i32_i24_e64_dpp v5, v1, v2, v3 quad_perm:[3,2,1,0] row_mask:0x3 bank_mask:0x0 ; encoding: [0x05,0x00,0x0a,0xd6,0xfa,0x04,0x0e,0x04,0x01,0x1b,0x00,0x30]
	;; [unrolled: 3-line block ×3, first 2 shown]

v_mad_i32_i24_e64_dpp v5, v1, v2, v3 clamp quad_perm:[3,2,1,0]
// GFX11: v_mad_i32_i24_e64_dpp v5, v1, v2, v3 clamp quad_perm:[3,2,1,0] row_mask:0xf bank_mask:0xf ; encoding: [0x05,0x80,0x0a,0xd6,0xfa,0x04,0x0e,0x04,0x01,0x1b,0x00,0xff]

v_mad_u16_e64_dpp v5.l, v1.l, v2.l, v3.l quad_perm:[3,2,1,0]
// GFX11: v_mad_u16_e64_dpp v5.l, v1.l, v2.l, v3.l quad_perm:[3,2,1,0] row_mask:0xf bank_mask:0xf ; encoding: [0x05,0x00,0x41,0xd6,0xfa,0x04,0x0e,0x04,0x01,0x1b,0x00,0xff]

v_mad_u16_e64_dpp v255.l, v255.l, v255.l, v255.l quad_perm:[3,2,1,0]
// GFX11: v_mad_u16_e64_dpp v255.l, v255.l, v255.l, v255.l quad_perm:[3,2,1,0] row_mask:0xf bank_mask:0xf ; encoding: [0xff,0x00,0x41,0xd6,0xfa,0xfe,0xff,0x07,0xff,0x1b,0x00,0xff]

v_mad_u16_e64_dpp v5.l, v1.l, v2.l, -1 quad_perm:[3,2,1,0]
// GFX11: v_mad_u16_e64_dpp v5.l, v1.l, v2.l, -1 quad_perm:[3,2,1,0] row_mask:0xf bank_mask:0xf ; encoding: [0x05,0x00,0x41,0xd6,0xfa,0x04,0x06,0x03,0x01,0x1b,0x00,0xff]

v_mad_u16_e64_dpp v5.l, v1.l, v2.l, 0.5 quad_perm:[3,2,1,0]
// GFX11: v_mad_u16_e64_dpp v5.l, v1.l, v2.l, 0.5 quad_perm:[3,2,1,0] row_mask:0xf bank_mask:0xf ; encoding: [0x05,0x00,0x41,0xd6,0xfa,0x04,0xc2,0x03,0x01,0x1b,0x00,0xff]

v_mad_u16_e64_dpp v5.l, v1.l, v2.l, exec_hi quad_perm:[3,2,1,0]
// GFX11: v_mad_u16_e64_dpp v5.l, v1.l, v2.l, exec_hi quad_perm:[3,2,1,0] row_mask:0xf bank_mask:0xf ; encoding: [0x05,0x00,0x41,0xd6,0xfa,0x04,0xfe,0x01,0x01,0x1b,0x00,0xff]

v_mad_u16_e64_dpp v5.l, v1.l, v2.l, exec_lo quad_perm:[3,2,1,0]
// GFX11: v_mad_u16_e64_dpp v5.l, v1.l, v2.l, exec_lo quad_perm:[3,2,1,0] row_mask:0xf bank_mask:0xf ; encoding: [0x05,0x00,0x41,0xd6,0xfa,0x04,0xfa,0x01,0x01,0x1b,0x00,0xff]

v_mad_u16_e64_dpp v5.l, v1.l, v2.l, m0 quad_perm:[3,2,1,0]
// GFX11: v_mad_u16_e64_dpp v5.l, v1.l, v2.l, m0 quad_perm:[3,2,1,0] row_mask:0xf bank_mask:0xf ; encoding: [0x05,0x00,0x41,0xd6,0xfa,0x04,0xf6,0x01,0x01,0x1b,0x00,0xff]

v_mad_u16_e64_dpp v5.l, v1.l, v2.l, null quad_perm:[3,2,1,0]
// GFX11: v_mad_u16_e64_dpp v5.l, v1.l, v2.l, null quad_perm:[3,2,1,0] row_mask:0xf bank_mask:0xf ; encoding: [0x05,0x00,0x41,0xd6,0xfa,0x04,0xf2,0x01,0x01,0x1b,0x00,0xff]

v_mad_u16_e64_dpp v5.l, v1.l, v2.l, s105 quad_perm:[3,2,1,0]
// GFX11: v_mad_u16_e64_dpp v5.l, v1.l, v2.l, s105 quad_perm:[3,2,1,0] row_mask:0xf bank_mask:0xf ; encoding: [0x05,0x00,0x41,0xd6,0xfa,0x04,0xa6,0x01,0x01,0x1b,0x00,0xff]

v_mad_u16_e64_dpp v5.l, v1.l, v2.l, s3 quad_perm:[3,2,1,0]
// GFX11: v_mad_u16_e64_dpp v5.l, v1.l, v2.l, s3 quad_perm:[3,2,1,0] row_mask:0xf bank_mask:0xf ; encoding: [0x05,0x00,0x41,0xd6,0xfa,0x04,0x0e,0x00,0x01,0x1b,0x00,0xff]

v_mad_u16_e64_dpp v5.l, v1.l, v2.l, src_scc quad_perm:[3,2,1,0]
// GFX11: v_mad_u16_e64_dpp v5.l, v1.l, v2.l, src_scc quad_perm:[3,2,1,0] row_mask:0xf bank_mask:0xf ; encoding: [0x05,0x00,0x41,0xd6,0xfa,0x04,0xf6,0x03,0x01,0x1b,0x00,0xff]

v_mad_u16_e64_dpp v5.l, v1.l, v2.l, ttmp15 quad_perm:[3,2,1,0]
// GFX11: v_mad_u16_e64_dpp v5.l, v1.l, v2.l, ttmp15 quad_perm:[3,2,1,0] row_mask:0xf bank_mask:0xf ; encoding: [0x05,0x00,0x41,0xd6,0xfa,0x04,0xee,0x01,0x01,0x1b,0x00,0xff]

v_mad_u16_e64_dpp v5.l, v1.l, v2.l, v255.h quad_perm:[3,2,1,0]
// GFX11: v_mad_u16_e64_dpp v5.l, v1.l, v2.l, v255.h op_sel:[0,0,1,0] quad_perm:[3,2,1,0] row_mask:0xf bank_mask:0xf ; encoding: [0x05,0x20,0x41,0xd6,0xfa,0x04,0xfe,0x07,0x01,0x1b,0x00,0xff]

v_mad_u16_e64_dpp v5.l, v1.l, v2.l, v255.l quad_perm:[3,2,1,0]
// GFX11: v_mad_u16_e64_dpp v5.l, v1.l, v2.l, v255.l quad_perm:[3,2,1,0] row_mask:0xf bank_mask:0xf ; encoding: [0x05,0x00,0x41,0xd6,0xfa,0x04,0xfe,0x07,0x01,0x1b,0x00,0xff]

v_mad_u16_e64_dpp v5.l, v1.l, v2.l, v3.h quad_perm:[3,2,1,0]
// GFX11: v_mad_u16_e64_dpp v5.l, v1.l, v2.l, v3.h op_sel:[0,0,1,0] quad_perm:[3,2,1,0] row_mask:0xf bank_mask:0xf ; encoding: [0x05,0x20,0x41,0xd6,0xfa,0x04,0x0e,0x04,0x01,0x1b,0x00,0xff]

v_mad_u16_e64_dpp v5.l, v1.l, v2.l, vcc_hi quad_perm:[3,2,1,0]
// GFX11: v_mad_u16_e64_dpp v5.l, v1.l, v2.l, vcc_hi quad_perm:[3,2,1,0] row_mask:0xf bank_mask:0xf ; encoding: [0x05,0x00,0x41,0xd6,0xfa,0x04,0xae,0x01,0x01,0x1b,0x00,0xff]

v_mad_u16_e64_dpp v5.l, v1.l, v2.l, vcc_lo quad_perm:[3,2,1,0]
// GFX11: v_mad_u16_e64_dpp v5.l, v1.l, v2.l, vcc_lo quad_perm:[3,2,1,0] row_mask:0xf bank_mask:0xf ; encoding: [0x05,0x00,0x41,0xd6,0xfa,0x04,0xaa,0x01,0x01,0x1b,0x00,0xff]

v_mad_u16_e64_dpp v5.l, v1.h, v2.l, v3.l op_sel:[1,0,0,0] quad_perm:[3,2,1,0]
// GFX11: v_mad_u16_e64_dpp v5.l, v1.h, v2.l, v3.l op_sel:[1,0,0,0] quad_perm:[3,2,1,0] row_mask:0xf bank_mask:0xf ; encoding: [0x05,0x08,0x41,0xd6,0xfa,0x04,0x0e,0x04,0x01,0x1b,0x00,0xff]

v_mad_u16_e64_dpp v5.l, v1.l, v2.h, v3.l op_sel:[0,1,0,0] quad_perm:[3,2,1,0]
// GFX11: v_mad_u16_e64_dpp v5.l, v1.l, v2.h, v3.l op_sel:[0,1,0,0] quad_perm:[3,2,1,0] row_mask:0xf bank_mask:0xf ; encoding: [0x05,0x10,0x41,0xd6,0xfa,0x04,0x0e,0x04,0x01,0x1b,0x00,0xff]

v_mad_u16_e64_dpp v5.l, v1.l, v2.l, v3.h op_sel:[0,0,1,0] quad_perm:[3,2,1,0]
// GFX11: v_mad_u16_e64_dpp v5.l, v1.l, v2.l, v3.h op_sel:[0,0,1,0] quad_perm:[3,2,1,0] row_mask:0xf bank_mask:0xf ; encoding: [0x05,0x20,0x41,0xd6,0xfa,0x04,0x0e,0x04,0x01,0x1b,0x00,0xff]

v_mad_u16_e64_dpp v5.l, v1.l, v2.l, v3.l quad_perm:[3,2,1,0] bound_ctrl:0
// GFX11: v_mad_u16_e64_dpp v5.l, v1.l, v2.l, v3.l quad_perm:[3,2,1,0] row_mask:0xf bank_mask:0xf ; encoding: [0x05,0x00,0x41,0xd6,0xfa,0x04,0x0e,0x04,0x01,0x1b,0x00,0xff]

v_mad_u16_e64_dpp v5.l, v1.l, v2.l, v3.l quad_perm:[3,2,1,0] bound_ctrl:1
// GFX11: v_mad_u16_e64_dpp v5.l, v1.l, v2.l, v3.l quad_perm:[3,2,1,0] row_mask:0xf bank_mask:0xf bound_ctrl:1 ; encoding: [0x05,0x00,0x41,0xd6,0xfa,0x04,0x0e,0x04,0x01,0x1b,0x08,0xff]

v_mad_u16_e64_dpp v5.l, v1.l, v2.l, v3.l quad_perm:[0,1,2,3]
// GFX11: v_mad_u16_e64_dpp v5.l, v1.l, v2.l, v3.l quad_perm:[0,1,2,3] row_mask:0xf bank_mask:0xf ; encoding: [0x05,0x00,0x41,0xd6,0xfa,0x04,0x0e,0x04,0x01,0xe4,0x00,0xff]

v_mad_u16_e64_dpp v5.l, v1.l, v2.l, v3.l row_half_mirror
// GFX11: v_mad_u16_e64_dpp v5.l, v1.l, v2.l, v3.l row_half_mirror row_mask:0xf bank_mask:0xf ; encoding: [0x05,0x00,0x41,0xd6,0xfa,0x04,0x0e,0x04,0x01,0x41,0x01,0xff]

v_mad_u16_e64_dpp v5.l, v1.l, v2.l, v3.l row_mirror
// GFX11: v_mad_u16_e64_dpp v5.l, v1.l, v2.l, v3.l row_mirror row_mask:0xf bank_mask:0xf ; encoding: [0x05,0x00,0x41,0xd6,0xfa,0x04,0x0e,0x04,0x01,0x40,0x01,0xff]

v_mad_u16_e64_dpp v5.l, v1.l, v2.l, v3.l row_ror:1
// GFX11: v_mad_u16_e64_dpp v5.l, v1.l, v2.l, v3.l row_ror:1 row_mask:0xf bank_mask:0xf ; encoding: [0x05,0x00,0x41,0xd6,0xfa,0x04,0x0e,0x04,0x01,0x21,0x01,0xff]

v_mad_u16_e64_dpp v5.l, v1.l, v2.l, v3.l row_ror:15
// GFX11: v_mad_u16_e64_dpp v5.l, v1.l, v2.l, v3.l row_ror:15 row_mask:0xf bank_mask:0xf ; encoding: [0x05,0x00,0x41,0xd6,0xfa,0x04,0x0e,0x04,0x01,0x2f,0x01,0xff]

v_mad_u16_e64_dpp v5.l, v1.l, v2.l, v3.l row_share:0
// GFX11: v_mad_u16_e64_dpp v5.l, v1.l, v2.l, v3.l row_share:0 row_mask:0xf bank_mask:0xf ; encoding: [0x05,0x00,0x41,0xd6,0xfa,0x04,0x0e,0x04,0x01,0x50,0x01,0xff]

v_mad_u16_e64_dpp v5.l, v1.l, v2.l, v3.l row_share:15
// GFX11: v_mad_u16_e64_dpp v5.l, v1.l, v2.l, v3.l row_share:15 row_mask:0xf bank_mask:0xf ; encoding: [0x05,0x00,0x41,0xd6,0xfa,0x04,0x0e,0x04,0x01,0x5f,0x01,0xff]

v_mad_u16_e64_dpp v5.l, v1.l, v2.l, v3.l row_shl:1
// GFX11: v_mad_u16_e64_dpp v5.l, v1.l, v2.l, v3.l row_shl:1 row_mask:0xf bank_mask:0xf ; encoding: [0x05,0x00,0x41,0xd6,0xfa,0x04,0x0e,0x04,0x01,0x01,0x01,0xff]

v_mad_u16_e64_dpp v5.l, v1.l, v2.l, v3.l row_shl:15
// GFX11: v_mad_u16_e64_dpp v5.l, v1.l, v2.l, v3.l row_shl:15 row_mask:0xf bank_mask:0xf ; encoding: [0x05,0x00,0x41,0xd6,0xfa,0x04,0x0e,0x04,0x01,0x0f,0x01,0xff]

v_mad_u16_e64_dpp v5.l, v1.l, v2.l, v3.l row_shr:1
// GFX11: v_mad_u16_e64_dpp v5.l, v1.l, v2.l, v3.l row_shr:1 row_mask:0xf bank_mask:0xf ; encoding: [0x05,0x00,0x41,0xd6,0xfa,0x04,0x0e,0x04,0x01,0x11,0x01,0xff]

v_mad_u16_e64_dpp v5.l, v1.l, v2.l, v3.l row_shr:15
// GFX11: v_mad_u16_e64_dpp v5.l, v1.l, v2.l, v3.l row_shr:15 row_mask:0xf bank_mask:0xf ; encoding: [0x05,0x00,0x41,0xd6,0xfa,0x04,0x0e,0x04,0x01,0x1f,0x01,0xff]

v_mad_u16_e64_dpp v5.l, v1.l, v2.l, v3.l row_xmask:0
// GFX11: v_mad_u16_e64_dpp v5.l, v1.l, v2.l, v3.l row_xmask:0 row_mask:0xf bank_mask:0xf ; encoding: [0x05,0x00,0x41,0xd6,0xfa,0x04,0x0e,0x04,0x01,0x60,0x01,0xff]

v_mad_u16_e64_dpp v5.l, v1.l, v2.l, v3.l row_xmask:15
// GFX11: v_mad_u16_e64_dpp v5.l, v1.l, v2.l, v3.l row_xmask:15 row_mask:0xf bank_mask:0xf ; encoding: [0x05,0x00,0x41,0xd6,0xfa,0x04,0x0e,0x04,0x01,0x6f,0x01,0xff]

v_mad_u16_e64_dpp v5.l, v1.l, v2.l, v3.l quad_perm:[3,2,1,0] fi:0
// GFX11: v_mad_u16_e64_dpp v5.l, v1.l, v2.l, v3.l quad_perm:[3,2,1,0] row_mask:0xf bank_mask:0xf ; encoding: [0x05,0x00,0x41,0xd6,0xfa,0x04,0x0e,0x04,0x01,0x1b,0x00,0xff]

v_mad_u16_e64_dpp v5.l, v1.l, v2.l, v3.l quad_perm:[3,2,1,0] fi:1
// GFX11: v_mad_u16_e64_dpp v5.l, v1.l, v2.l, v3.l quad_perm:[3,2,1,0] row_mask:0xf bank_mask:0xf fi:1 ; encoding: [0x05,0x00,0x41,0xd6,0xfa,0x04,0x0e,0x04,0x01,0x1b,0x04,0xff]

v_mad_u16_e64_dpp v5.l, v1.l, v2.l, v3.l quad_perm:[3,2,1,0] row_mask:0x0 bank_mask:0x1
// GFX11: v_mad_u16_e64_dpp v5.l, v1.l, v2.l, v3.l quad_perm:[3,2,1,0] row_mask:0x0 bank_mask:0x1 ; encoding: [0x05,0x00,0x41,0xd6,0xfa,0x04,0x0e,0x04,0x01,0x1b,0x00,0x01]

v_mad_u16_e64_dpp v5.l, v1.l, v2.l, v3.l quad_perm:[3,2,1,0] row_mask:0x3 bank_mask:0x0
// GFX11: v_mad_u16_e64_dpp v5.l, v1.l, v2.l, v3.l quad_perm:[3,2,1,0] row_mask:0x3 bank_mask:0x0 ; encoding: [0x05,0x00,0x41,0xd6,0xfa,0x04,0x0e,0x04,0x01,0x1b,0x00,0x30]
	;; [unrolled: 3-line block ×3, first 2 shown]

v_mad_u16_e64_dpp v5.l, v1.l, v2.l, v3.l clamp quad_perm:[3,2,1,0]
// GFX11: v_mad_u16_e64_dpp v5.l, v1.l, v2.l, v3.l clamp quad_perm:[3,2,1,0] row_mask:0xf bank_mask:0xf ; encoding: [0x05,0x80,0x41,0xd6,0xfa,0x04,0x0e,0x04,0x01,0x1b,0x00,0xff]

v_mad_u32_u16_e64_dpp v5, v1.l, v2.l, v3 quad_perm:[3,2,1,0]
// GFX11: v_mad_u32_u16_e64_dpp v5, v1.l, v2.l, v3 quad_perm:[3,2,1,0] row_mask:0xf bank_mask:0xf ; encoding: [0x05,0x00,0x59,0xd6,0xfa,0x04,0x0e,0x04,0x01,0x1b,0x00,0xff]

v_mad_u32_u16_e64_dpp v255, v255.l, v255.l, v255 quad_perm:[3,2,1,0]
// GFX11: v_mad_u32_u16_e64_dpp v255, v255.l, v255.l, v255 quad_perm:[3,2,1,0] row_mask:0xf bank_mask:0xf ; encoding: [0xff,0x00,0x59,0xd6,0xfa,0xfe,0xff,0x07,0xff,0x1b,0x00,0xff]

v_mad_u32_u16_e64_dpp v5, v1.l, v2.l, -1 quad_perm:[3,2,1,0]
// GFX11: v_mad_u32_u16_e64_dpp v5, v1.l, v2.l, -1 quad_perm:[3,2,1,0] row_mask:0xf bank_mask:0xf ; encoding: [0x05,0x00,0x59,0xd6,0xfa,0x04,0x06,0x03,0x01,0x1b,0x00,0xff]

v_mad_u32_u16_e64_dpp v5, v1.l, v2.l, 0.5 quad_perm:[3,2,1,0]
// GFX11: v_mad_u32_u16_e64_dpp v5, v1.l, v2.l, 0.5 quad_perm:[3,2,1,0] row_mask:0xf bank_mask:0xf ; encoding: [0x05,0x00,0x59,0xd6,0xfa,0x04,0xc2,0x03,0x01,0x1b,0x00,0xff]

v_mad_u32_u16_e64_dpp v5, v1.l, v2.l, exec_hi quad_perm:[3,2,1,0]
// GFX11: v_mad_u32_u16_e64_dpp v5, v1.l, v2.l, exec_hi quad_perm:[3,2,1,0] row_mask:0xf bank_mask:0xf ; encoding: [0x05,0x00,0x59,0xd6,0xfa,0x04,0xfe,0x01,0x01,0x1b,0x00,0xff]

v_mad_u32_u16_e64_dpp v5, v1.l, v2.l, exec_lo quad_perm:[3,2,1,0]
// GFX11: v_mad_u32_u16_e64_dpp v5, v1.l, v2.l, exec_lo quad_perm:[3,2,1,0] row_mask:0xf bank_mask:0xf ; encoding: [0x05,0x00,0x59,0xd6,0xfa,0x04,0xfa,0x01,0x01,0x1b,0x00,0xff]

v_mad_u32_u16_e64_dpp v5, v1.l, v2.l, m0 quad_perm:[3,2,1,0]
// GFX11: v_mad_u32_u16_e64_dpp v5, v1.l, v2.l, m0 quad_perm:[3,2,1,0] row_mask:0xf bank_mask:0xf ; encoding: [0x05,0x00,0x59,0xd6,0xfa,0x04,0xf6,0x01,0x01,0x1b,0x00,0xff]

v_mad_u32_u16_e64_dpp v5, v1.l, v2.l, null quad_perm:[3,2,1,0]
// GFX11: v_mad_u32_u16_e64_dpp v5, v1.l, v2.l, null quad_perm:[3,2,1,0] row_mask:0xf bank_mask:0xf ; encoding: [0x05,0x00,0x59,0xd6,0xfa,0x04,0xf2,0x01,0x01,0x1b,0x00,0xff]

v_mad_u32_u16_e64_dpp v5, v1.l, v2.l, s105 quad_perm:[3,2,1,0]
// GFX11: v_mad_u32_u16_e64_dpp v5, v1.l, v2.l, s105 quad_perm:[3,2,1,0] row_mask:0xf bank_mask:0xf ; encoding: [0x05,0x00,0x59,0xd6,0xfa,0x04,0xa6,0x01,0x01,0x1b,0x00,0xff]

v_mad_u32_u16_e64_dpp v5, v1.l, v2.l, s3 quad_perm:[3,2,1,0]
// GFX11: v_mad_u32_u16_e64_dpp v5, v1.l, v2.l, s3 quad_perm:[3,2,1,0] row_mask:0xf bank_mask:0xf ; encoding: [0x05,0x00,0x59,0xd6,0xfa,0x04,0x0e,0x00,0x01,0x1b,0x00,0xff]

v_mad_u32_u16_e64_dpp v5, v1.l, v2.l, src_scc quad_perm:[3,2,1,0]
// GFX11: v_mad_u32_u16_e64_dpp v5, v1.l, v2.l, src_scc quad_perm:[3,2,1,0] row_mask:0xf bank_mask:0xf ; encoding: [0x05,0x00,0x59,0xd6,0xfa,0x04,0xf6,0x03,0x01,0x1b,0x00,0xff]

v_mad_u32_u16_e64_dpp v5, v1.l, v2.l, ttmp15 quad_perm:[3,2,1,0]
// GFX11: v_mad_u32_u16_e64_dpp v5, v1.l, v2.l, ttmp15 quad_perm:[3,2,1,0] row_mask:0xf bank_mask:0xf ; encoding: [0x05,0x00,0x59,0xd6,0xfa,0x04,0xee,0x01,0x01,0x1b,0x00,0xff]

v_mad_u32_u16_e64_dpp v5, v1.l, v2.l, v255 quad_perm:[3,2,1,0]
// GFX11: v_mad_u32_u16_e64_dpp v5, v1.l, v2.l, v255 quad_perm:[3,2,1,0] row_mask:0xf bank_mask:0xf ; encoding: [0x05,0x00,0x59,0xd6,0xfa,0x04,0xfe,0x07,0x01,0x1b,0x00,0xff]

v_mad_u32_u16_e64_dpp v5, v1.l, v2.l, vcc_hi quad_perm:[3,2,1,0]
// GFX11: v_mad_u32_u16_e64_dpp v5, v1.l, v2.l, vcc_hi quad_perm:[3,2,1,0] row_mask:0xf bank_mask:0xf ; encoding: [0x05,0x00,0x59,0xd6,0xfa,0x04,0xae,0x01,0x01,0x1b,0x00,0xff]

v_mad_u32_u16_e64_dpp v5, v1.l, v2.l, vcc_lo quad_perm:[3,2,1,0]
// GFX11: v_mad_u32_u16_e64_dpp v5, v1.l, v2.l, vcc_lo quad_perm:[3,2,1,0] row_mask:0xf bank_mask:0xf ; encoding: [0x05,0x00,0x59,0xd6,0xfa,0x04,0xaa,0x01,0x01,0x1b,0x00,0xff]

v_mad_u32_u16_e64_dpp v5, v1.h, v2.l, v3 op_sel:[1,0,0,0] quad_perm:[3,2,1,0]
// GFX11: v_mad_u32_u16_e64_dpp v5, v1.h, v2.l, v3 op_sel:[1,0,0,0] quad_perm:[3,2,1,0] row_mask:0xf bank_mask:0xf ; encoding: [0x05,0x08,0x59,0xd6,0xfa,0x04,0x0e,0x04,0x01,0x1b,0x00,0xff]

v_mad_u32_u16_e64_dpp v5, v1.l, v2.h, v3 op_sel:[0,1,0,0] quad_perm:[3,2,1,0]
// GFX11: v_mad_u32_u16_e64_dpp v5, v1.l, v2.h, v3 op_sel:[0,1,0,0] quad_perm:[3,2,1,0] row_mask:0xf bank_mask:0xf ; encoding: [0x05,0x10,0x59,0xd6,0xfa,0x04,0x0e,0x04,0x01,0x1b,0x00,0xff]

v_mad_u32_u16_e64_dpp v5, v1.l, v2.l, v3 quad_perm:[3,2,1,0] bound_ctrl:0
// GFX11: v_mad_u32_u16_e64_dpp v5, v1.l, v2.l, v3 quad_perm:[3,2,1,0] row_mask:0xf bank_mask:0xf ; encoding: [0x05,0x00,0x59,0xd6,0xfa,0x04,0x0e,0x04,0x01,0x1b,0x00,0xff]

v_mad_u32_u16_e64_dpp v5, v1.l, v2.l, v3 quad_perm:[3,2,1,0] bound_ctrl:1
// GFX11: v_mad_u32_u16_e64_dpp v5, v1.l, v2.l, v3 quad_perm:[3,2,1,0] row_mask:0xf bank_mask:0xf bound_ctrl:1 ; encoding: [0x05,0x00,0x59,0xd6,0xfa,0x04,0x0e,0x04,0x01,0x1b,0x08,0xff]

v_mad_u32_u16_e64_dpp v5, v1.l, v2.l, v3 quad_perm:[0,1,2,3]
// GFX11: v_mad_u32_u16_e64_dpp v5, v1.l, v2.l, v3 quad_perm:[0,1,2,3] row_mask:0xf bank_mask:0xf ; encoding: [0x05,0x00,0x59,0xd6,0xfa,0x04,0x0e,0x04,0x01,0xe4,0x00,0xff]

v_mad_u32_u16_e64_dpp v5, v1.l, v2.l, v3 row_half_mirror
// GFX11: v_mad_u32_u16_e64_dpp v5, v1.l, v2.l, v3 row_half_mirror row_mask:0xf bank_mask:0xf ; encoding: [0x05,0x00,0x59,0xd6,0xfa,0x04,0x0e,0x04,0x01,0x41,0x01,0xff]

v_mad_u32_u16_e64_dpp v5, v1.l, v2.l, v3 row_mirror
// GFX11: v_mad_u32_u16_e64_dpp v5, v1.l, v2.l, v3 row_mirror row_mask:0xf bank_mask:0xf ; encoding: [0x05,0x00,0x59,0xd6,0xfa,0x04,0x0e,0x04,0x01,0x40,0x01,0xff]

v_mad_u32_u16_e64_dpp v5, v1.l, v2.l, v3 row_ror:1
// GFX11: v_mad_u32_u16_e64_dpp v5, v1.l, v2.l, v3 row_ror:1 row_mask:0xf bank_mask:0xf ; encoding: [0x05,0x00,0x59,0xd6,0xfa,0x04,0x0e,0x04,0x01,0x21,0x01,0xff]

v_mad_u32_u16_e64_dpp v5, v1.l, v2.l, v3 row_ror:15
// GFX11: v_mad_u32_u16_e64_dpp v5, v1.l, v2.l, v3 row_ror:15 row_mask:0xf bank_mask:0xf ; encoding: [0x05,0x00,0x59,0xd6,0xfa,0x04,0x0e,0x04,0x01,0x2f,0x01,0xff]

v_mad_u32_u16_e64_dpp v5, v1.l, v2.l, v3 row_share:0
// GFX11: v_mad_u32_u16_e64_dpp v5, v1.l, v2.l, v3 row_share:0 row_mask:0xf bank_mask:0xf ; encoding: [0x05,0x00,0x59,0xd6,0xfa,0x04,0x0e,0x04,0x01,0x50,0x01,0xff]

v_mad_u32_u16_e64_dpp v5, v1.l, v2.l, v3 row_share:15
// GFX11: v_mad_u32_u16_e64_dpp v5, v1.l, v2.l, v3 row_share:15 row_mask:0xf bank_mask:0xf ; encoding: [0x05,0x00,0x59,0xd6,0xfa,0x04,0x0e,0x04,0x01,0x5f,0x01,0xff]

v_mad_u32_u16_e64_dpp v5, v1.l, v2.l, v3 row_shl:1
// GFX11: v_mad_u32_u16_e64_dpp v5, v1.l, v2.l, v3 row_shl:1 row_mask:0xf bank_mask:0xf ; encoding: [0x05,0x00,0x59,0xd6,0xfa,0x04,0x0e,0x04,0x01,0x01,0x01,0xff]

v_mad_u32_u16_e64_dpp v5, v1.l, v2.l, v3 row_shl:15
// GFX11: v_mad_u32_u16_e64_dpp v5, v1.l, v2.l, v3 row_shl:15 row_mask:0xf bank_mask:0xf ; encoding: [0x05,0x00,0x59,0xd6,0xfa,0x04,0x0e,0x04,0x01,0x0f,0x01,0xff]

v_mad_u32_u16_e64_dpp v5, v1.l, v2.l, v3 row_shr:1
// GFX11: v_mad_u32_u16_e64_dpp v5, v1.l, v2.l, v3 row_shr:1 row_mask:0xf bank_mask:0xf ; encoding: [0x05,0x00,0x59,0xd6,0xfa,0x04,0x0e,0x04,0x01,0x11,0x01,0xff]

v_mad_u32_u16_e64_dpp v5, v1.l, v2.l, v3 row_shr:15
// GFX11: v_mad_u32_u16_e64_dpp v5, v1.l, v2.l, v3 row_shr:15 row_mask:0xf bank_mask:0xf ; encoding: [0x05,0x00,0x59,0xd6,0xfa,0x04,0x0e,0x04,0x01,0x1f,0x01,0xff]

v_mad_u32_u16_e64_dpp v5, v1.l, v2.l, v3 row_xmask:0
// GFX11: v_mad_u32_u16_e64_dpp v5, v1.l, v2.l, v3 row_xmask:0 row_mask:0xf bank_mask:0xf ; encoding: [0x05,0x00,0x59,0xd6,0xfa,0x04,0x0e,0x04,0x01,0x60,0x01,0xff]

v_mad_u32_u16_e64_dpp v5, v1.l, v2.l, v3 row_xmask:15
// GFX11: v_mad_u32_u16_e64_dpp v5, v1.l, v2.l, v3 row_xmask:15 row_mask:0xf bank_mask:0xf ; encoding: [0x05,0x00,0x59,0xd6,0xfa,0x04,0x0e,0x04,0x01,0x6f,0x01,0xff]

v_mad_u32_u16_e64_dpp v5, v1.l, v2.l, v3 quad_perm:[3,2,1,0] fi:0
// GFX11: v_mad_u32_u16_e64_dpp v5, v1.l, v2.l, v3 quad_perm:[3,2,1,0] row_mask:0xf bank_mask:0xf ; encoding: [0x05,0x00,0x59,0xd6,0xfa,0x04,0x0e,0x04,0x01,0x1b,0x00,0xff]

v_mad_u32_u16_e64_dpp v5, v1.l, v2.l, v3 quad_perm:[3,2,1,0] fi:1
// GFX11: v_mad_u32_u16_e64_dpp v5, v1.l, v2.l, v3 quad_perm:[3,2,1,0] row_mask:0xf bank_mask:0xf fi:1 ; encoding: [0x05,0x00,0x59,0xd6,0xfa,0x04,0x0e,0x04,0x01,0x1b,0x04,0xff]

v_mad_u32_u16_e64_dpp v5, v1.l, v2.l, v3 quad_perm:[3,2,1,0] row_mask:0x0 bank_mask:0x1
// GFX11: v_mad_u32_u16_e64_dpp v5, v1.l, v2.l, v3 quad_perm:[3,2,1,0] row_mask:0x0 bank_mask:0x1 ; encoding: [0x05,0x00,0x59,0xd6,0xfa,0x04,0x0e,0x04,0x01,0x1b,0x00,0x01]

v_mad_u32_u16_e64_dpp v5, v1.l, v2.l, v3 quad_perm:[3,2,1,0] row_mask:0x3 bank_mask:0x0
// GFX11: v_mad_u32_u16_e64_dpp v5, v1.l, v2.l, v3 quad_perm:[3,2,1,0] row_mask:0x3 bank_mask:0x0 ; encoding: [0x05,0x00,0x59,0xd6,0xfa,0x04,0x0e,0x04,0x01,0x1b,0x00,0x30]
	;; [unrolled: 3-line block ×3, first 2 shown]

v_mad_u32_u16_e64_dpp v5, v1.l, v2.l, v3 clamp quad_perm:[3,2,1,0]
// GFX11: v_mad_u32_u16_e64_dpp v5, v1.l, v2.l, v3 clamp quad_perm:[3,2,1,0] row_mask:0xf bank_mask:0xf ; encoding: [0x05,0x80,0x59,0xd6,0xfa,0x04,0x0e,0x04,0x01,0x1b,0x00,0xff]

v_mad_u32_u24_e64_dpp v5, v1, v2, v3 quad_perm:[3,2,1,0]
// GFX11: v_mad_u32_u24_e64_dpp v5, v1, v2, v3 quad_perm:[3,2,1,0] row_mask:0xf bank_mask:0xf ; encoding: [0x05,0x00,0x0b,0xd6,0xfa,0x04,0x0e,0x04,0x01,0x1b,0x00,0xff]

v_mad_u32_u24_e64_dpp v255, v255, v255, v255 quad_perm:[3,2,1,0]
// GFX11: v_mad_u32_u24_e64_dpp v255, v255, v255, v255 quad_perm:[3,2,1,0] row_mask:0xf bank_mask:0xf ; encoding: [0xff,0x00,0x0b,0xd6,0xfa,0xfe,0xff,0x07,0xff,0x1b,0x00,0xff]

v_mad_u32_u24_e64_dpp v5, v1, v2, -1 quad_perm:[3,2,1,0]
// GFX11: v_mad_u32_u24_e64_dpp v5, v1, v2, -1 quad_perm:[3,2,1,0] row_mask:0xf bank_mask:0xf ; encoding: [0x05,0x00,0x0b,0xd6,0xfa,0x04,0x06,0x03,0x01,0x1b,0x00,0xff]

v_mad_u32_u24_e64_dpp v5, v1, v2, 0.5 quad_perm:[3,2,1,0]
// GFX11: v_mad_u32_u24_e64_dpp v5, v1, v2, 0.5 quad_perm:[3,2,1,0] row_mask:0xf bank_mask:0xf ; encoding: [0x05,0x00,0x0b,0xd6,0xfa,0x04,0xc2,0x03,0x01,0x1b,0x00,0xff]

v_mad_u32_u24_e64_dpp v5, v1, v2, exec_hi quad_perm:[3,2,1,0]
// GFX11: v_mad_u32_u24_e64_dpp v5, v1, v2, exec_hi quad_perm:[3,2,1,0] row_mask:0xf bank_mask:0xf ; encoding: [0x05,0x00,0x0b,0xd6,0xfa,0x04,0xfe,0x01,0x01,0x1b,0x00,0xff]

v_mad_u32_u24_e64_dpp v5, v1, v2, exec_lo quad_perm:[3,2,1,0]
// GFX11: v_mad_u32_u24_e64_dpp v5, v1, v2, exec_lo quad_perm:[3,2,1,0] row_mask:0xf bank_mask:0xf ; encoding: [0x05,0x00,0x0b,0xd6,0xfa,0x04,0xfa,0x01,0x01,0x1b,0x00,0xff]

v_mad_u32_u24_e64_dpp v5, v1, v2, m0 quad_perm:[3,2,1,0]
// GFX11: v_mad_u32_u24_e64_dpp v5, v1, v2, m0 quad_perm:[3,2,1,0] row_mask:0xf bank_mask:0xf ; encoding: [0x05,0x00,0x0b,0xd6,0xfa,0x04,0xf6,0x01,0x01,0x1b,0x00,0xff]

v_mad_u32_u24_e64_dpp v5, v1, v2, null quad_perm:[3,2,1,0]
// GFX11: v_mad_u32_u24_e64_dpp v5, v1, v2, null quad_perm:[3,2,1,0] row_mask:0xf bank_mask:0xf ; encoding: [0x05,0x00,0x0b,0xd6,0xfa,0x04,0xf2,0x01,0x01,0x1b,0x00,0xff]

v_mad_u32_u24_e64_dpp v5, v1, v2, s105 quad_perm:[3,2,1,0]
// GFX11: v_mad_u32_u24_e64_dpp v5, v1, v2, s105 quad_perm:[3,2,1,0] row_mask:0xf bank_mask:0xf ; encoding: [0x05,0x00,0x0b,0xd6,0xfa,0x04,0xa6,0x01,0x01,0x1b,0x00,0xff]

v_mad_u32_u24_e64_dpp v5, v1, v2, s3 quad_perm:[3,2,1,0]
// GFX11: v_mad_u32_u24_e64_dpp v5, v1, v2, s3 quad_perm:[3,2,1,0] row_mask:0xf bank_mask:0xf ; encoding: [0x05,0x00,0x0b,0xd6,0xfa,0x04,0x0e,0x00,0x01,0x1b,0x00,0xff]

v_mad_u32_u24_e64_dpp v5, v1, v2, src_scc quad_perm:[3,2,1,0]
// GFX11: v_mad_u32_u24_e64_dpp v5, v1, v2, src_scc quad_perm:[3,2,1,0] row_mask:0xf bank_mask:0xf ; encoding: [0x05,0x00,0x0b,0xd6,0xfa,0x04,0xf6,0x03,0x01,0x1b,0x00,0xff]

v_mad_u32_u24_e64_dpp v5, v1, v2, ttmp15 quad_perm:[3,2,1,0]
// GFX11: v_mad_u32_u24_e64_dpp v5, v1, v2, ttmp15 quad_perm:[3,2,1,0] row_mask:0xf bank_mask:0xf ; encoding: [0x05,0x00,0x0b,0xd6,0xfa,0x04,0xee,0x01,0x01,0x1b,0x00,0xff]

v_mad_u32_u24_e64_dpp v5, v1, v2, v255 quad_perm:[3,2,1,0]
// GFX11: v_mad_u32_u24_e64_dpp v5, v1, v2, v255 quad_perm:[3,2,1,0] row_mask:0xf bank_mask:0xf ; encoding: [0x05,0x00,0x0b,0xd6,0xfa,0x04,0xfe,0x07,0x01,0x1b,0x00,0xff]

v_mad_u32_u24_e64_dpp v5, v1, v2, vcc_hi quad_perm:[3,2,1,0]
// GFX11: v_mad_u32_u24_e64_dpp v5, v1, v2, vcc_hi quad_perm:[3,2,1,0] row_mask:0xf bank_mask:0xf ; encoding: [0x05,0x00,0x0b,0xd6,0xfa,0x04,0xae,0x01,0x01,0x1b,0x00,0xff]

v_mad_u32_u24_e64_dpp v5, v1, v2, vcc_lo quad_perm:[3,2,1,0]
// GFX11: v_mad_u32_u24_e64_dpp v5, v1, v2, vcc_lo quad_perm:[3,2,1,0] row_mask:0xf bank_mask:0xf ; encoding: [0x05,0x00,0x0b,0xd6,0xfa,0x04,0xaa,0x01,0x01,0x1b,0x00,0xff]

v_mad_u32_u24_e64_dpp v5, v1, v2, v3 quad_perm:[3,2,1,0] bound_ctrl:0
// GFX11: v_mad_u32_u24_e64_dpp v5, v1, v2, v3 quad_perm:[3,2,1,0] row_mask:0xf bank_mask:0xf ; encoding: [0x05,0x00,0x0b,0xd6,0xfa,0x04,0x0e,0x04,0x01,0x1b,0x00,0xff]

v_mad_u32_u24_e64_dpp v5, v1, v2, v3 quad_perm:[3,2,1,0] bound_ctrl:1
// GFX11: v_mad_u32_u24_e64_dpp v5, v1, v2, v3 quad_perm:[3,2,1,0] row_mask:0xf bank_mask:0xf bound_ctrl:1 ; encoding: [0x05,0x00,0x0b,0xd6,0xfa,0x04,0x0e,0x04,0x01,0x1b,0x08,0xff]

v_mad_u32_u24_e64_dpp v5, v1, v2, v3 quad_perm:[0,1,2,3]
// GFX11: v_mad_u32_u24_e64_dpp v5, v1, v2, v3 quad_perm:[0,1,2,3] row_mask:0xf bank_mask:0xf ; encoding: [0x05,0x00,0x0b,0xd6,0xfa,0x04,0x0e,0x04,0x01,0xe4,0x00,0xff]

v_mad_u32_u24_e64_dpp v5, v1, v2, v3 row_half_mirror
// GFX11: v_mad_u32_u24_e64_dpp v5, v1, v2, v3 row_half_mirror row_mask:0xf bank_mask:0xf ; encoding: [0x05,0x00,0x0b,0xd6,0xfa,0x04,0x0e,0x04,0x01,0x41,0x01,0xff]

v_mad_u32_u24_e64_dpp v5, v1, v2, v3 row_mirror
// GFX11: v_mad_u32_u24_e64_dpp v5, v1, v2, v3 row_mirror row_mask:0xf bank_mask:0xf ; encoding: [0x05,0x00,0x0b,0xd6,0xfa,0x04,0x0e,0x04,0x01,0x40,0x01,0xff]

v_mad_u32_u24_e64_dpp v5, v1, v2, v3 row_ror:1
// GFX11: v_mad_u32_u24_e64_dpp v5, v1, v2, v3 row_ror:1 row_mask:0xf bank_mask:0xf ; encoding: [0x05,0x00,0x0b,0xd6,0xfa,0x04,0x0e,0x04,0x01,0x21,0x01,0xff]

v_mad_u32_u24_e64_dpp v5, v1, v2, v3 row_ror:15
// GFX11: v_mad_u32_u24_e64_dpp v5, v1, v2, v3 row_ror:15 row_mask:0xf bank_mask:0xf ; encoding: [0x05,0x00,0x0b,0xd6,0xfa,0x04,0x0e,0x04,0x01,0x2f,0x01,0xff]

v_mad_u32_u24_e64_dpp v5, v1, v2, v3 row_share:0
// GFX11: v_mad_u32_u24_e64_dpp v5, v1, v2, v3 row_share:0 row_mask:0xf bank_mask:0xf ; encoding: [0x05,0x00,0x0b,0xd6,0xfa,0x04,0x0e,0x04,0x01,0x50,0x01,0xff]

v_mad_u32_u24_e64_dpp v5, v1, v2, v3 row_share:15
// GFX11: v_mad_u32_u24_e64_dpp v5, v1, v2, v3 row_share:15 row_mask:0xf bank_mask:0xf ; encoding: [0x05,0x00,0x0b,0xd6,0xfa,0x04,0x0e,0x04,0x01,0x5f,0x01,0xff]

v_mad_u32_u24_e64_dpp v5, v1, v2, v3 row_shl:1
// GFX11: v_mad_u32_u24_e64_dpp v5, v1, v2, v3 row_shl:1 row_mask:0xf bank_mask:0xf ; encoding: [0x05,0x00,0x0b,0xd6,0xfa,0x04,0x0e,0x04,0x01,0x01,0x01,0xff]

v_mad_u32_u24_e64_dpp v5, v1, v2, v3 row_shl:15
// GFX11: v_mad_u32_u24_e64_dpp v5, v1, v2, v3 row_shl:15 row_mask:0xf bank_mask:0xf ; encoding: [0x05,0x00,0x0b,0xd6,0xfa,0x04,0x0e,0x04,0x01,0x0f,0x01,0xff]

v_mad_u32_u24_e64_dpp v5, v1, v2, v3 row_shr:1
// GFX11: v_mad_u32_u24_e64_dpp v5, v1, v2, v3 row_shr:1 row_mask:0xf bank_mask:0xf ; encoding: [0x05,0x00,0x0b,0xd6,0xfa,0x04,0x0e,0x04,0x01,0x11,0x01,0xff]

v_mad_u32_u24_e64_dpp v5, v1, v2, v3 row_shr:15
// GFX11: v_mad_u32_u24_e64_dpp v5, v1, v2, v3 row_shr:15 row_mask:0xf bank_mask:0xf ; encoding: [0x05,0x00,0x0b,0xd6,0xfa,0x04,0x0e,0x04,0x01,0x1f,0x01,0xff]

v_mad_u32_u24_e64_dpp v5, v1, v2, v3 row_xmask:0
// GFX11: v_mad_u32_u24_e64_dpp v5, v1, v2, v3 row_xmask:0 row_mask:0xf bank_mask:0xf ; encoding: [0x05,0x00,0x0b,0xd6,0xfa,0x04,0x0e,0x04,0x01,0x60,0x01,0xff]

v_mad_u32_u24_e64_dpp v5, v1, v2, v3 row_xmask:15
// GFX11: v_mad_u32_u24_e64_dpp v5, v1, v2, v3 row_xmask:15 row_mask:0xf bank_mask:0xf ; encoding: [0x05,0x00,0x0b,0xd6,0xfa,0x04,0x0e,0x04,0x01,0x6f,0x01,0xff]

v_mad_u32_u24_e64_dpp v5, v1, v2, v3 quad_perm:[3,2,1,0] fi:0
// GFX11: v_mad_u32_u24_e64_dpp v5, v1, v2, v3 quad_perm:[3,2,1,0] row_mask:0xf bank_mask:0xf ; encoding: [0x05,0x00,0x0b,0xd6,0xfa,0x04,0x0e,0x04,0x01,0x1b,0x00,0xff]

v_mad_u32_u24_e64_dpp v5, v1, v2, v3 quad_perm:[3,2,1,0] fi:1
// GFX11: v_mad_u32_u24_e64_dpp v5, v1, v2, v3 quad_perm:[3,2,1,0] row_mask:0xf bank_mask:0xf fi:1 ; encoding: [0x05,0x00,0x0b,0xd6,0xfa,0x04,0x0e,0x04,0x01,0x1b,0x04,0xff]

v_mad_u32_u24_e64_dpp v5, v1, v2, v3 quad_perm:[3,2,1,0] row_mask:0x0 bank_mask:0x1
// GFX11: v_mad_u32_u24_e64_dpp v5, v1, v2, v3 quad_perm:[3,2,1,0] row_mask:0x0 bank_mask:0x1 ; encoding: [0x05,0x00,0x0b,0xd6,0xfa,0x04,0x0e,0x04,0x01,0x1b,0x00,0x01]

v_mad_u32_u24_e64_dpp v5, v1, v2, v3 quad_perm:[3,2,1,0] row_mask:0x3 bank_mask:0x0
// GFX11: v_mad_u32_u24_e64_dpp v5, v1, v2, v3 quad_perm:[3,2,1,0] row_mask:0x3 bank_mask:0x0 ; encoding: [0x05,0x00,0x0b,0xd6,0xfa,0x04,0x0e,0x04,0x01,0x1b,0x00,0x30]

v_mad_u32_u24_e64_dpp v5, v1, v2, v3 quad_perm:[3,2,1,0] row_mask:0xf bank_mask:0xf
// GFX11: v_mad_u32_u24_e64_dpp v5, v1, v2, v3 quad_perm:[3,2,1,0] row_mask:0xf bank_mask:0xf ; encoding: [0x05,0x00,0x0b,0xd6,0xfa,0x04,0x0e,0x04,0x01,0x1b,0x00,0xff]

v_mad_u32_u24_e64_dpp v5, v1, v2, v3 clamp quad_perm:[3,2,1,0]
// GFX11: v_mad_u32_u24_e64_dpp v5, v1, v2, v3 clamp quad_perm:[3,2,1,0] row_mask:0xf bank_mask:0xf ; encoding: [0x05,0x80,0x0b,0xd6,0xfa,0x04,0x0e,0x04,0x01,0x1b,0x00,0xff]

v_max3_f16_e64_dpp v5.l, v1.l, v2.l, v3.l quad_perm:[3,2,1,0]
// GFX11: v_max3_f16_e64_dpp v5.l, v1.l, v2.l, v3.l quad_perm:[3,2,1,0] row_mask:0xf bank_mask:0xf ; encoding: [0x05,0x00,0x4c,0xd6,0xfa,0x04,0x0e,0x04,0x01,0x1b,0x00,0xff]

v_max3_f16_e64_dpp v255.l, v255.l, v255.l, v255.l quad_perm:[3,2,1,0]
// GFX11: v_max3_f16_e64_dpp v255.l, v255.l, v255.l, v255.l quad_perm:[3,2,1,0] row_mask:0xf bank_mask:0xf ; encoding: [0xff,0x00,0x4c,0xd6,0xfa,0xfe,0xff,0x07,0xff,0x1b,0x00,0xff]

v_max3_f16_e64_dpp v5.l, -v7.l, v2.l, v3.l quad_perm:[3,2,1,0]
// GFX11: v_max3_f16_e64_dpp v5.l, -v7.l, v2.l, v3.l quad_perm:[3,2,1,0] row_mask:0xf bank_mask:0xf ; encoding: [0x05,0x00,0x4c,0xd6,0xfa,0x04,0x0e,0x24,0x07,0x1b,0x00,0xff]

v_max3_f16_e64_dpp v5.l, |v7.l|, v2.l, v3.l quad_perm:[3,2,1,0]
// GFX11: v_max3_f16_e64_dpp v5.l, |v7.l|, v2.l, v3.l quad_perm:[3,2,1,0] row_mask:0xf bank_mask:0xf ; encoding: [0x05,0x01,0x4c,0xd6,0xfa,0x04,0x0e,0x04,0x07,0x1b,0x00,0xff]

v_max3_f16_e64_dpp v5.l, -|v7.l|, v2.l, v3.l quad_perm:[3,2,1,0]
// GFX11: v_max3_f16_e64_dpp v5.l, -|v7.l|, v2.l, v3.l quad_perm:[3,2,1,0] row_mask:0xf bank_mask:0xf ; encoding: [0x05,0x01,0x4c,0xd6,0xfa,0x04,0x0e,0x24,0x07,0x1b,0x00,0xff]

v_max3_f16_e64_dpp v5.l, v1.l, -v7.l, v3.l quad_perm:[3,2,1,0]
// GFX11: v_max3_f16_e64_dpp v5.l, v1.l, -v7.l, v3.l quad_perm:[3,2,1,0] row_mask:0xf bank_mask:0xf ; encoding: [0x05,0x00,0x4c,0xd6,0xfa,0x0e,0x0e,0x44,0x01,0x1b,0x00,0xff]

v_max3_f16_e64_dpp v5.l, v1.l, |v7.l|, v3.l quad_perm:[3,2,1,0]
// GFX11: v_max3_f16_e64_dpp v5.l, v1.l, |v7.l|, v3.l quad_perm:[3,2,1,0] row_mask:0xf bank_mask:0xf ; encoding: [0x05,0x02,0x4c,0xd6,0xfa,0x0e,0x0e,0x04,0x01,0x1b,0x00,0xff]

v_max3_f16_e64_dpp v5.l, v1.l, -|v7.l|, v3.l quad_perm:[3,2,1,0]
// GFX11: v_max3_f16_e64_dpp v5.l, v1.l, -|v7.l|, v3.l quad_perm:[3,2,1,0] row_mask:0xf bank_mask:0xf ; encoding: [0x05,0x02,0x4c,0xd6,0xfa,0x0e,0x0e,0x44,0x01,0x1b,0x00,0xff]

v_max3_f16_e64_dpp v5.l, v1.l, v2.l, -1 quad_perm:[3,2,1,0]
// GFX11: v_max3_f16_e64_dpp v5.l, v1.l, v2.l, -1 quad_perm:[3,2,1,0] row_mask:0xf bank_mask:0xf ; encoding: [0x05,0x00,0x4c,0xd6,0xfa,0x04,0x06,0x03,0x01,0x1b,0x00,0xff]

v_max3_f16_e64_dpp v5.l, v1.l, v2.l, 0.5 quad_perm:[3,2,1,0]
// GFX11: v_max3_f16_e64_dpp v5.l, v1.l, v2.l, 0.5 quad_perm:[3,2,1,0] row_mask:0xf bank_mask:0xf ; encoding: [0x05,0x00,0x4c,0xd6,0xfa,0x04,0xc2,0x03,0x01,0x1b,0x00,0xff]

v_max3_f16_e64_dpp v5.l, v1.l, v2.l, exec_hi quad_perm:[3,2,1,0]
// GFX11: v_max3_f16_e64_dpp v5.l, v1.l, v2.l, exec_hi quad_perm:[3,2,1,0] row_mask:0xf bank_mask:0xf ; encoding: [0x05,0x00,0x4c,0xd6,0xfa,0x04,0xfe,0x01,0x01,0x1b,0x00,0xff]

v_max3_f16_e64_dpp v5.l, v1.l, v2.l, exec_lo quad_perm:[3,2,1,0]
// GFX11: v_max3_f16_e64_dpp v5.l, v1.l, v2.l, exec_lo quad_perm:[3,2,1,0] row_mask:0xf bank_mask:0xf ; encoding: [0x05,0x00,0x4c,0xd6,0xfa,0x04,0xfa,0x01,0x01,0x1b,0x00,0xff]

v_max3_f16_e64_dpp v5.l, v1.l, v2.l, m0 quad_perm:[3,2,1,0]
// GFX11: v_max3_f16_e64_dpp v5.l, v1.l, v2.l, m0 quad_perm:[3,2,1,0] row_mask:0xf bank_mask:0xf ; encoding: [0x05,0x00,0x4c,0xd6,0xfa,0x04,0xf6,0x01,0x01,0x1b,0x00,0xff]

v_max3_f16_e64_dpp v5.l, v1.l, v2.l, null quad_perm:[3,2,1,0]
// GFX11: v_max3_f16_e64_dpp v5.l, v1.l, v2.l, null quad_perm:[3,2,1,0] row_mask:0xf bank_mask:0xf ; encoding: [0x05,0x00,0x4c,0xd6,0xfa,0x04,0xf2,0x01,0x01,0x1b,0x00,0xff]

v_max3_f16_e64_dpp v5.l, v1.l, v2.l, s105 quad_perm:[3,2,1,0]
// GFX11: v_max3_f16_e64_dpp v5.l, v1.l, v2.l, s105 quad_perm:[3,2,1,0] row_mask:0xf bank_mask:0xf ; encoding: [0x05,0x00,0x4c,0xd6,0xfa,0x04,0xa6,0x01,0x01,0x1b,0x00,0xff]

v_max3_f16_e64_dpp v5.l, v1.l, v2.l, s3 quad_perm:[3,2,1,0]
// GFX11: v_max3_f16_e64_dpp v5.l, v1.l, v2.l, s3 quad_perm:[3,2,1,0] row_mask:0xf bank_mask:0xf ; encoding: [0x05,0x00,0x4c,0xd6,0xfa,0x04,0x0e,0x00,0x01,0x1b,0x00,0xff]

v_max3_f16_e64_dpp v5.l, v1.l, v2.l, src_scc quad_perm:[3,2,1,0]
// GFX11: v_max3_f16_e64_dpp v5.l, v1.l, v2.l, src_scc quad_perm:[3,2,1,0] row_mask:0xf bank_mask:0xf ; encoding: [0x05,0x00,0x4c,0xd6,0xfa,0x04,0xf6,0x03,0x01,0x1b,0x00,0xff]

v_max3_f16_e64_dpp v5.l, v1.l, v2.l, ttmp15 quad_perm:[3,2,1,0]
// GFX11: v_max3_f16_e64_dpp v5.l, v1.l, v2.l, ttmp15 quad_perm:[3,2,1,0] row_mask:0xf bank_mask:0xf ; encoding: [0x05,0x00,0x4c,0xd6,0xfa,0x04,0xee,0x01,0x01,0x1b,0x00,0xff]

v_max3_f16_e64_dpp v5.l, v1.l, v2.l, v255.h quad_perm:[3,2,1,0]
// GFX11: v_max3_f16_e64_dpp v5.l, v1.l, v2.l, v255.h op_sel:[0,0,1,0] quad_perm:[3,2,1,0] row_mask:0xf bank_mask:0xf ; encoding: [0x05,0x20,0x4c,0xd6,0xfa,0x04,0xfe,0x07,0x01,0x1b,0x00,0xff]

v_max3_f16_e64_dpp v5.l, v1.l, v2.l, v255.l quad_perm:[3,2,1,0]
// GFX11: v_max3_f16_e64_dpp v5.l, v1.l, v2.l, v255.l quad_perm:[3,2,1,0] row_mask:0xf bank_mask:0xf ; encoding: [0x05,0x00,0x4c,0xd6,0xfa,0x04,0xfe,0x07,0x01,0x1b,0x00,0xff]

v_max3_f16_e64_dpp v5.l, v1.l, v2.l, v3.h quad_perm:[3,2,1,0]
// GFX11: v_max3_f16_e64_dpp v5.l, v1.l, v2.l, v3.h op_sel:[0,0,1,0] quad_perm:[3,2,1,0] row_mask:0xf bank_mask:0xf ; encoding: [0x05,0x20,0x4c,0xd6,0xfa,0x04,0x0e,0x04,0x01,0x1b,0x00,0xff]

v_max3_f16_e64_dpp v5.l, v1.l, v2.l, vcc_hi quad_perm:[3,2,1,0]
// GFX11: v_max3_f16_e64_dpp v5.l, v1.l, v2.l, vcc_hi quad_perm:[3,2,1,0] row_mask:0xf bank_mask:0xf ; encoding: [0x05,0x00,0x4c,0xd6,0xfa,0x04,0xae,0x01,0x01,0x1b,0x00,0xff]

v_max3_f16_e64_dpp v5.l, v1.l, v2.l, vcc_lo quad_perm:[3,2,1,0]
// GFX11: v_max3_f16_e64_dpp v5.l, v1.l, v2.l, vcc_lo quad_perm:[3,2,1,0] row_mask:0xf bank_mask:0xf ; encoding: [0x05,0x00,0x4c,0xd6,0xfa,0x04,0xaa,0x01,0x01,0x1b,0x00,0xff]

v_max3_f16_e64_dpp v5.l, v1.l, v2.l, -|0.5| quad_perm:[3,2,1,0]
// GFX11: v_max3_f16_e64_dpp v5.l, v1.l, v2.l, -|0.5| quad_perm:[3,2,1,0] row_mask:0xf bank_mask:0xf ; encoding: [0x05,0x04,0x4c,0xd6,0xfa,0x04,0xc2,0x83,0x01,0x1b,0x00,0xff]

v_max3_f16_e64_dpp v5.l, v1.h, v2.l, v3.l op_sel:[1,0,0,0] quad_perm:[3,2,1,0]
// GFX11: v_max3_f16_e64_dpp v5.l, v1.h, v2.l, v3.l op_sel:[1,0,0,0] quad_perm:[3,2,1,0] row_mask:0xf bank_mask:0xf ; encoding: [0x05,0x08,0x4c,0xd6,0xfa,0x04,0x0e,0x04,0x01,0x1b,0x00,0xff]

v_max3_f16_e64_dpp v5.l, v1.l, v2.h, v3.l op_sel:[0,1,0,0] quad_perm:[3,2,1,0]
// GFX11: v_max3_f16_e64_dpp v5.l, v1.l, v2.h, v3.l op_sel:[0,1,0,0] quad_perm:[3,2,1,0] row_mask:0xf bank_mask:0xf ; encoding: [0x05,0x10,0x4c,0xd6,0xfa,0x04,0x0e,0x04,0x01,0x1b,0x00,0xff]

v_max3_f16_e64_dpp v5.l, v1.l, v2.l, v3.h op_sel:[0,0,1,0] quad_perm:[3,2,1,0]
// GFX11: v_max3_f16_e64_dpp v5.l, v1.l, v2.l, v3.h op_sel:[0,0,1,0] quad_perm:[3,2,1,0] row_mask:0xf bank_mask:0xf ; encoding: [0x05,0x20,0x4c,0xd6,0xfa,0x04,0x0e,0x04,0x01,0x1b,0x00,0xff]

v_max3_f16_e64_dpp v5.l, v1.l, v2.l, v3.l quad_perm:[3,2,1,0] bound_ctrl:0
// GFX11: v_max3_f16_e64_dpp v5.l, v1.l, v2.l, v3.l quad_perm:[3,2,1,0] row_mask:0xf bank_mask:0xf ; encoding: [0x05,0x00,0x4c,0xd6,0xfa,0x04,0x0e,0x04,0x01,0x1b,0x00,0xff]

v_max3_f16_e64_dpp v5.l, v1.l, v2.l, v3.l quad_perm:[3,2,1,0] bound_ctrl:1
// GFX11: v_max3_f16_e64_dpp v5.l, v1.l, v2.l, v3.l quad_perm:[3,2,1,0] row_mask:0xf bank_mask:0xf bound_ctrl:1 ; encoding: [0x05,0x00,0x4c,0xd6,0xfa,0x04,0x0e,0x04,0x01,0x1b,0x08,0xff]

v_max3_f16_e64_dpp v5.l, v1.l, v2.l, v3.l quad_perm:[0,1,2,3]
// GFX11: v_max3_f16_e64_dpp v5.l, v1.l, v2.l, v3.l quad_perm:[0,1,2,3] row_mask:0xf bank_mask:0xf ; encoding: [0x05,0x00,0x4c,0xd6,0xfa,0x04,0x0e,0x04,0x01,0xe4,0x00,0xff]

v_max3_f16_e64_dpp v5.l, v1.l, v2.l, v3.l row_half_mirror
// GFX11: v_max3_f16_e64_dpp v5.l, v1.l, v2.l, v3.l row_half_mirror row_mask:0xf bank_mask:0xf ; encoding: [0x05,0x00,0x4c,0xd6,0xfa,0x04,0x0e,0x04,0x01,0x41,0x01,0xff]

v_max3_f16_e64_dpp v5.l, v1.l, v2.l, v3.l row_mirror
// GFX11: v_max3_f16_e64_dpp v5.l, v1.l, v2.l, v3.l row_mirror row_mask:0xf bank_mask:0xf ; encoding: [0x05,0x00,0x4c,0xd6,0xfa,0x04,0x0e,0x04,0x01,0x40,0x01,0xff]

v_max3_f16_e64_dpp v5.l, v1.l, v2.l, v3.l row_ror:1
// GFX11: v_max3_f16_e64_dpp v5.l, v1.l, v2.l, v3.l row_ror:1 row_mask:0xf bank_mask:0xf ; encoding: [0x05,0x00,0x4c,0xd6,0xfa,0x04,0x0e,0x04,0x01,0x21,0x01,0xff]

v_max3_f16_e64_dpp v5.l, v1.l, v2.l, v3.l row_ror:15
// GFX11: v_max3_f16_e64_dpp v5.l, v1.l, v2.l, v3.l row_ror:15 row_mask:0xf bank_mask:0xf ; encoding: [0x05,0x00,0x4c,0xd6,0xfa,0x04,0x0e,0x04,0x01,0x2f,0x01,0xff]

v_max3_f16_e64_dpp v5.l, v1.l, v2.l, v3.l row_share:0
// GFX11: v_max3_f16_e64_dpp v5.l, v1.l, v2.l, v3.l row_share:0 row_mask:0xf bank_mask:0xf ; encoding: [0x05,0x00,0x4c,0xd6,0xfa,0x04,0x0e,0x04,0x01,0x50,0x01,0xff]

v_max3_f16_e64_dpp v5.l, v1.l, v2.l, v3.l row_share:15
// GFX11: v_max3_f16_e64_dpp v5.l, v1.l, v2.l, v3.l row_share:15 row_mask:0xf bank_mask:0xf ; encoding: [0x05,0x00,0x4c,0xd6,0xfa,0x04,0x0e,0x04,0x01,0x5f,0x01,0xff]

v_max3_f16_e64_dpp v5.l, v1.l, v2.l, v3.l row_shl:1
// GFX11: v_max3_f16_e64_dpp v5.l, v1.l, v2.l, v3.l row_shl:1 row_mask:0xf bank_mask:0xf ; encoding: [0x05,0x00,0x4c,0xd6,0xfa,0x04,0x0e,0x04,0x01,0x01,0x01,0xff]

v_max3_f16_e64_dpp v5.l, v1.l, v2.l, v3.l row_shl:15
// GFX11: v_max3_f16_e64_dpp v5.l, v1.l, v2.l, v3.l row_shl:15 row_mask:0xf bank_mask:0xf ; encoding: [0x05,0x00,0x4c,0xd6,0xfa,0x04,0x0e,0x04,0x01,0x0f,0x01,0xff]

v_max3_f16_e64_dpp v5.l, v1.l, v2.l, v3.l row_shr:1
// GFX11: v_max3_f16_e64_dpp v5.l, v1.l, v2.l, v3.l row_shr:1 row_mask:0xf bank_mask:0xf ; encoding: [0x05,0x00,0x4c,0xd6,0xfa,0x04,0x0e,0x04,0x01,0x11,0x01,0xff]

v_max3_f16_e64_dpp v5.l, v1.l, v2.l, v3.l row_shr:15
// GFX11: v_max3_f16_e64_dpp v5.l, v1.l, v2.l, v3.l row_shr:15 row_mask:0xf bank_mask:0xf ; encoding: [0x05,0x00,0x4c,0xd6,0xfa,0x04,0x0e,0x04,0x01,0x1f,0x01,0xff]

v_max3_f16_e64_dpp v5.l, v1.l, v2.l, v3.l row_xmask:0
// GFX11: v_max3_f16_e64_dpp v5.l, v1.l, v2.l, v3.l row_xmask:0 row_mask:0xf bank_mask:0xf ; encoding: [0x05,0x00,0x4c,0xd6,0xfa,0x04,0x0e,0x04,0x01,0x60,0x01,0xff]

v_max3_f16_e64_dpp v5.l, v1.l, v2.l, v3.l row_xmask:15
// GFX11: v_max3_f16_e64_dpp v5.l, v1.l, v2.l, v3.l row_xmask:15 row_mask:0xf bank_mask:0xf ; encoding: [0x05,0x00,0x4c,0xd6,0xfa,0x04,0x0e,0x04,0x01,0x6f,0x01,0xff]

v_max3_f16_e64_dpp v5.l, v1.l, v2.l, v3.l quad_perm:[3,2,1,0] fi:0
// GFX11: v_max3_f16_e64_dpp v5.l, v1.l, v2.l, v3.l quad_perm:[3,2,1,0] row_mask:0xf bank_mask:0xf ; encoding: [0x05,0x00,0x4c,0xd6,0xfa,0x04,0x0e,0x04,0x01,0x1b,0x00,0xff]

v_max3_f16_e64_dpp v5.l, v1.l, v2.l, v3.l quad_perm:[3,2,1,0] fi:1
// GFX11: v_max3_f16_e64_dpp v5.l, v1.l, v2.l, v3.l quad_perm:[3,2,1,0] row_mask:0xf bank_mask:0xf fi:1 ; encoding: [0x05,0x00,0x4c,0xd6,0xfa,0x04,0x0e,0x04,0x01,0x1b,0x04,0xff]

v_max3_f16_e64_dpp v5.l, v1.l, v2.l, v3.l div:2 quad_perm:[3,2,1,0]
// GFX11: v_max3_f16_e64_dpp v5.l, v1.l, v2.l, v3.l div:2 quad_perm:[3,2,1,0] row_mask:0xf bank_mask:0xf ; encoding: [0x05,0x00,0x4c,0xd6,0xfa,0x04,0x0e,0x1c,0x01,0x1b,0x00,0xff]

v_max3_f16_e64_dpp v5.l, v1.l, v2.l, v3.l mul:2 quad_perm:[3,2,1,0]
// GFX11: v_max3_f16_e64_dpp v5.l, v1.l, v2.l, v3.l mul:2 quad_perm:[3,2,1,0] row_mask:0xf bank_mask:0xf ; encoding: [0x05,0x00,0x4c,0xd6,0xfa,0x04,0x0e,0x0c,0x01,0x1b,0x00,0xff]

v_max3_f16_e64_dpp v5.l, v1.l, v2.l, v3.l mul:4 quad_perm:[3,2,1,0]
// GFX11: v_max3_f16_e64_dpp v5.l, v1.l, v2.l, v3.l mul:4 quad_perm:[3,2,1,0] row_mask:0xf bank_mask:0xf ; encoding: [0x05,0x00,0x4c,0xd6,0xfa,0x04,0x0e,0x14,0x01,0x1b,0x00,0xff]

v_max3_f16_e64_dpp v5.l, v1.l, v2.l, v3.l quad_perm:[3,2,1,0] row_mask:0x0 bank_mask:0x1
// GFX11: v_max3_f16_e64_dpp v5.l, v1.l, v2.l, v3.l quad_perm:[3,2,1,0] row_mask:0x0 bank_mask:0x1 ; encoding: [0x05,0x00,0x4c,0xd6,0xfa,0x04,0x0e,0x04,0x01,0x1b,0x00,0x01]

v_max3_f16_e64_dpp v5.l, v1.l, v2.l, v3.l quad_perm:[3,2,1,0] row_mask:0x3 bank_mask:0x0
// GFX11: v_max3_f16_e64_dpp v5.l, v1.l, v2.l, v3.l quad_perm:[3,2,1,0] row_mask:0x3 bank_mask:0x0 ; encoding: [0x05,0x00,0x4c,0xd6,0xfa,0x04,0x0e,0x04,0x01,0x1b,0x00,0x30]
	;; [unrolled: 3-line block ×3, first 2 shown]

v_max3_f16_e64_dpp v5.l, v1.l, v2.l, v3.l clamp quad_perm:[3,2,1,0]
// GFX11: v_max3_f16_e64_dpp v5.l, v1.l, v2.l, v3.l clamp quad_perm:[3,2,1,0] row_mask:0xf bank_mask:0xf ; encoding: [0x05,0x80,0x4c,0xd6,0xfa,0x04,0x0e,0x04,0x01,0x1b,0x00,0xff]

v_max3_f32_e64_dpp v5, v1, v2, v3 quad_perm:[3,2,1,0]
// GFX11: v_max3_f32_e64_dpp v5, v1, v2, v3 quad_perm:[3,2,1,0] row_mask:0xf bank_mask:0xf ; encoding: [0x05,0x00,0x1c,0xd6,0xfa,0x04,0x0e,0x04,0x01,0x1b,0x00,0xff]

v_max3_f32_e64_dpp v255, v255, v255, v255 quad_perm:[3,2,1,0]
// GFX11: v_max3_f32_e64_dpp v255, v255, v255, v255 quad_perm:[3,2,1,0] row_mask:0xf bank_mask:0xf ; encoding: [0xff,0x00,0x1c,0xd6,0xfa,0xfe,0xff,0x07,0xff,0x1b,0x00,0xff]

v_max3_f32_e64_dpp v5, -v7, v2, v3 quad_perm:[3,2,1,0]
// GFX11: v_max3_f32_e64_dpp v5, -v7, v2, v3 quad_perm:[3,2,1,0] row_mask:0xf bank_mask:0xf ; encoding: [0x05,0x00,0x1c,0xd6,0xfa,0x04,0x0e,0x24,0x07,0x1b,0x00,0xff]

v_max3_f32_e64_dpp v5, |v7|, v2, v3 quad_perm:[3,2,1,0]
// GFX11: v_max3_f32_e64_dpp v5, |v7|, v2, v3 quad_perm:[3,2,1,0] row_mask:0xf bank_mask:0xf ; encoding: [0x05,0x01,0x1c,0xd6,0xfa,0x04,0x0e,0x04,0x07,0x1b,0x00,0xff]

v_max3_f32_e64_dpp v5, -|v7|, v2, v3 quad_perm:[3,2,1,0]
// GFX11: v_max3_f32_e64_dpp v5, -|v7|, v2, v3 quad_perm:[3,2,1,0] row_mask:0xf bank_mask:0xf ; encoding: [0x05,0x01,0x1c,0xd6,0xfa,0x04,0x0e,0x24,0x07,0x1b,0x00,0xff]

v_max3_f32_e64_dpp v5, v1, -v7, v3 quad_perm:[3,2,1,0]
// GFX11: v_max3_f32_e64_dpp v5, v1, -v7, v3 quad_perm:[3,2,1,0] row_mask:0xf bank_mask:0xf ; encoding: [0x05,0x00,0x1c,0xd6,0xfa,0x0e,0x0e,0x44,0x01,0x1b,0x00,0xff]

v_max3_f32_e64_dpp v5, v1, |v7|, v3 quad_perm:[3,2,1,0]
// GFX11: v_max3_f32_e64_dpp v5, v1, |v7|, v3 quad_perm:[3,2,1,0] row_mask:0xf bank_mask:0xf ; encoding: [0x05,0x02,0x1c,0xd6,0xfa,0x0e,0x0e,0x04,0x01,0x1b,0x00,0xff]

v_max3_f32_e64_dpp v5, v1, -|v7|, v3 quad_perm:[3,2,1,0]
// GFX11: v_max3_f32_e64_dpp v5, v1, -|v7|, v3 quad_perm:[3,2,1,0] row_mask:0xf bank_mask:0xf ; encoding: [0x05,0x02,0x1c,0xd6,0xfa,0x0e,0x0e,0x44,0x01,0x1b,0x00,0xff]

v_max3_f32_e64_dpp v5, v1, v2, -1 quad_perm:[3,2,1,0]
// GFX11: v_max3_f32_e64_dpp v5, v1, v2, -1 quad_perm:[3,2,1,0] row_mask:0xf bank_mask:0xf ; encoding: [0x05,0x00,0x1c,0xd6,0xfa,0x04,0x06,0x03,0x01,0x1b,0x00,0xff]

v_max3_f32_e64_dpp v5, v1, v2, 0.5 quad_perm:[3,2,1,0]
// GFX11: v_max3_f32_e64_dpp v5, v1, v2, 0.5 quad_perm:[3,2,1,0] row_mask:0xf bank_mask:0xf ; encoding: [0x05,0x00,0x1c,0xd6,0xfa,0x04,0xc2,0x03,0x01,0x1b,0x00,0xff]

v_max3_f32_e64_dpp v5, v1, v2, exec_hi quad_perm:[3,2,1,0]
// GFX11: v_max3_f32_e64_dpp v5, v1, v2, exec_hi quad_perm:[3,2,1,0] row_mask:0xf bank_mask:0xf ; encoding: [0x05,0x00,0x1c,0xd6,0xfa,0x04,0xfe,0x01,0x01,0x1b,0x00,0xff]

v_max3_f32_e64_dpp v5, v1, v2, exec_lo quad_perm:[3,2,1,0]
// GFX11: v_max3_f32_e64_dpp v5, v1, v2, exec_lo quad_perm:[3,2,1,0] row_mask:0xf bank_mask:0xf ; encoding: [0x05,0x00,0x1c,0xd6,0xfa,0x04,0xfa,0x01,0x01,0x1b,0x00,0xff]

v_max3_f32_e64_dpp v5, v1, v2, m0 quad_perm:[3,2,1,0]
// GFX11: v_max3_f32_e64_dpp v5, v1, v2, m0 quad_perm:[3,2,1,0] row_mask:0xf bank_mask:0xf ; encoding: [0x05,0x00,0x1c,0xd6,0xfa,0x04,0xf6,0x01,0x01,0x1b,0x00,0xff]

v_max3_f32_e64_dpp v5, v1, v2, null quad_perm:[3,2,1,0]
// GFX11: v_max3_f32_e64_dpp v5, v1, v2, null quad_perm:[3,2,1,0] row_mask:0xf bank_mask:0xf ; encoding: [0x05,0x00,0x1c,0xd6,0xfa,0x04,0xf2,0x01,0x01,0x1b,0x00,0xff]

v_max3_f32_e64_dpp v5, v1, v2, s105 quad_perm:[3,2,1,0]
// GFX11: v_max3_f32_e64_dpp v5, v1, v2, s105 quad_perm:[3,2,1,0] row_mask:0xf bank_mask:0xf ; encoding: [0x05,0x00,0x1c,0xd6,0xfa,0x04,0xa6,0x01,0x01,0x1b,0x00,0xff]

v_max3_f32_e64_dpp v5, v1, v2, s3 quad_perm:[3,2,1,0]
// GFX11: v_max3_f32_e64_dpp v5, v1, v2, s3 quad_perm:[3,2,1,0] row_mask:0xf bank_mask:0xf ; encoding: [0x05,0x00,0x1c,0xd6,0xfa,0x04,0x0e,0x00,0x01,0x1b,0x00,0xff]

v_max3_f32_e64_dpp v5, v1, v2, src_scc quad_perm:[3,2,1,0]
// GFX11: v_max3_f32_e64_dpp v5, v1, v2, src_scc quad_perm:[3,2,1,0] row_mask:0xf bank_mask:0xf ; encoding: [0x05,0x00,0x1c,0xd6,0xfa,0x04,0xf6,0x03,0x01,0x1b,0x00,0xff]

v_max3_f32_e64_dpp v5, v1, v2, ttmp15 quad_perm:[3,2,1,0]
// GFX11: v_max3_f32_e64_dpp v5, v1, v2, ttmp15 quad_perm:[3,2,1,0] row_mask:0xf bank_mask:0xf ; encoding: [0x05,0x00,0x1c,0xd6,0xfa,0x04,0xee,0x01,0x01,0x1b,0x00,0xff]

v_max3_f32_e64_dpp v5, v1, v2, v255 quad_perm:[3,2,1,0]
// GFX11: v_max3_f32_e64_dpp v5, v1, v2, v255 quad_perm:[3,2,1,0] row_mask:0xf bank_mask:0xf ; encoding: [0x05,0x00,0x1c,0xd6,0xfa,0x04,0xfe,0x07,0x01,0x1b,0x00,0xff]

v_max3_f32_e64_dpp v5, v1, v2, vcc_hi quad_perm:[3,2,1,0]
// GFX11: v_max3_f32_e64_dpp v5, v1, v2, vcc_hi quad_perm:[3,2,1,0] row_mask:0xf bank_mask:0xf ; encoding: [0x05,0x00,0x1c,0xd6,0xfa,0x04,0xae,0x01,0x01,0x1b,0x00,0xff]

v_max3_f32_e64_dpp v5, v1, v2, vcc_lo quad_perm:[3,2,1,0]
// GFX11: v_max3_f32_e64_dpp v5, v1, v2, vcc_lo quad_perm:[3,2,1,0] row_mask:0xf bank_mask:0xf ; encoding: [0x05,0x00,0x1c,0xd6,0xfa,0x04,0xaa,0x01,0x01,0x1b,0x00,0xff]

v_max3_f32_e64_dpp v5, v1, v2, -|0.5| quad_perm:[3,2,1,0]
// GFX11: v_max3_f32_e64_dpp v5, v1, v2, -|0.5| quad_perm:[3,2,1,0] row_mask:0xf bank_mask:0xf ; encoding: [0x05,0x04,0x1c,0xd6,0xfa,0x04,0xc2,0x83,0x01,0x1b,0x00,0xff]

v_max3_f32_e64_dpp v5, v1, v2, v3 quad_perm:[3,2,1,0] bound_ctrl:0
// GFX11: v_max3_f32_e64_dpp v5, v1, v2, v3 quad_perm:[3,2,1,0] row_mask:0xf bank_mask:0xf ; encoding: [0x05,0x00,0x1c,0xd6,0xfa,0x04,0x0e,0x04,0x01,0x1b,0x00,0xff]

v_max3_f32_e64_dpp v5, v1, v2, v3 quad_perm:[3,2,1,0] bound_ctrl:1
// GFX11: v_max3_f32_e64_dpp v5, v1, v2, v3 quad_perm:[3,2,1,0] row_mask:0xf bank_mask:0xf bound_ctrl:1 ; encoding: [0x05,0x00,0x1c,0xd6,0xfa,0x04,0x0e,0x04,0x01,0x1b,0x08,0xff]

v_max3_f32_e64_dpp v5, v1, v2, v3 quad_perm:[0,1,2,3]
// GFX11: v_max3_f32_e64_dpp v5, v1, v2, v3 quad_perm:[0,1,2,3] row_mask:0xf bank_mask:0xf ; encoding: [0x05,0x00,0x1c,0xd6,0xfa,0x04,0x0e,0x04,0x01,0xe4,0x00,0xff]

v_max3_f32_e64_dpp v5, v1, v2, v3 row_half_mirror
// GFX11: v_max3_f32_e64_dpp v5, v1, v2, v3 row_half_mirror row_mask:0xf bank_mask:0xf ; encoding: [0x05,0x00,0x1c,0xd6,0xfa,0x04,0x0e,0x04,0x01,0x41,0x01,0xff]

v_max3_f32_e64_dpp v5, v1, v2, v3 row_mirror
// GFX11: v_max3_f32_e64_dpp v5, v1, v2, v3 row_mirror row_mask:0xf bank_mask:0xf ; encoding: [0x05,0x00,0x1c,0xd6,0xfa,0x04,0x0e,0x04,0x01,0x40,0x01,0xff]

v_max3_f32_e64_dpp v5, v1, v2, v3 row_ror:1
// GFX11: v_max3_f32_e64_dpp v5, v1, v2, v3 row_ror:1 row_mask:0xf bank_mask:0xf ; encoding: [0x05,0x00,0x1c,0xd6,0xfa,0x04,0x0e,0x04,0x01,0x21,0x01,0xff]

v_max3_f32_e64_dpp v5, v1, v2, v3 row_ror:15
// GFX11: v_max3_f32_e64_dpp v5, v1, v2, v3 row_ror:15 row_mask:0xf bank_mask:0xf ; encoding: [0x05,0x00,0x1c,0xd6,0xfa,0x04,0x0e,0x04,0x01,0x2f,0x01,0xff]

v_max3_f32_e64_dpp v5, v1, v2, v3 row_share:0
// GFX11: v_max3_f32_e64_dpp v5, v1, v2, v3 row_share:0 row_mask:0xf bank_mask:0xf ; encoding: [0x05,0x00,0x1c,0xd6,0xfa,0x04,0x0e,0x04,0x01,0x50,0x01,0xff]

v_max3_f32_e64_dpp v5, v1, v2, v3 row_share:15
// GFX11: v_max3_f32_e64_dpp v5, v1, v2, v3 row_share:15 row_mask:0xf bank_mask:0xf ; encoding: [0x05,0x00,0x1c,0xd6,0xfa,0x04,0x0e,0x04,0x01,0x5f,0x01,0xff]

v_max3_f32_e64_dpp v5, v1, v2, v3 row_shl:1
// GFX11: v_max3_f32_e64_dpp v5, v1, v2, v3 row_shl:1 row_mask:0xf bank_mask:0xf ; encoding: [0x05,0x00,0x1c,0xd6,0xfa,0x04,0x0e,0x04,0x01,0x01,0x01,0xff]

v_max3_f32_e64_dpp v5, v1, v2, v3 row_shl:15
// GFX11: v_max3_f32_e64_dpp v5, v1, v2, v3 row_shl:15 row_mask:0xf bank_mask:0xf ; encoding: [0x05,0x00,0x1c,0xd6,0xfa,0x04,0x0e,0x04,0x01,0x0f,0x01,0xff]

v_max3_f32_e64_dpp v5, v1, v2, v3 row_shr:1
// GFX11: v_max3_f32_e64_dpp v5, v1, v2, v3 row_shr:1 row_mask:0xf bank_mask:0xf ; encoding: [0x05,0x00,0x1c,0xd6,0xfa,0x04,0x0e,0x04,0x01,0x11,0x01,0xff]

v_max3_f32_e64_dpp v5, v1, v2, v3 row_shr:15
// GFX11: v_max3_f32_e64_dpp v5, v1, v2, v3 row_shr:15 row_mask:0xf bank_mask:0xf ; encoding: [0x05,0x00,0x1c,0xd6,0xfa,0x04,0x0e,0x04,0x01,0x1f,0x01,0xff]

v_max3_f32_e64_dpp v5, v1, v2, v3 row_xmask:0
// GFX11: v_max3_f32_e64_dpp v5, v1, v2, v3 row_xmask:0 row_mask:0xf bank_mask:0xf ; encoding: [0x05,0x00,0x1c,0xd6,0xfa,0x04,0x0e,0x04,0x01,0x60,0x01,0xff]

v_max3_f32_e64_dpp v5, v1, v2, v3 row_xmask:15
// GFX11: v_max3_f32_e64_dpp v5, v1, v2, v3 row_xmask:15 row_mask:0xf bank_mask:0xf ; encoding: [0x05,0x00,0x1c,0xd6,0xfa,0x04,0x0e,0x04,0x01,0x6f,0x01,0xff]

v_max3_f32_e64_dpp v5, v1, v2, v3 quad_perm:[3,2,1,0] fi:0
// GFX11: v_max3_f32_e64_dpp v5, v1, v2, v3 quad_perm:[3,2,1,0] row_mask:0xf bank_mask:0xf ; encoding: [0x05,0x00,0x1c,0xd6,0xfa,0x04,0x0e,0x04,0x01,0x1b,0x00,0xff]

v_max3_f32_e64_dpp v5, v1, v2, v3 quad_perm:[3,2,1,0] fi:1
// GFX11: v_max3_f32_e64_dpp v5, v1, v2, v3 quad_perm:[3,2,1,0] row_mask:0xf bank_mask:0xf fi:1 ; encoding: [0x05,0x00,0x1c,0xd6,0xfa,0x04,0x0e,0x04,0x01,0x1b,0x04,0xff]

v_max3_f32_e64_dpp v5, v1, v2, v3 div:2 quad_perm:[3,2,1,0]
// GFX11: v_max3_f32_e64_dpp v5, v1, v2, v3 div:2 quad_perm:[3,2,1,0] row_mask:0xf bank_mask:0xf ; encoding: [0x05,0x00,0x1c,0xd6,0xfa,0x04,0x0e,0x1c,0x01,0x1b,0x00,0xff]

v_max3_f32_e64_dpp v5, v1, v2, v3 mul:2 quad_perm:[3,2,1,0]
// GFX11: v_max3_f32_e64_dpp v5, v1, v2, v3 mul:2 quad_perm:[3,2,1,0] row_mask:0xf bank_mask:0xf ; encoding: [0x05,0x00,0x1c,0xd6,0xfa,0x04,0x0e,0x0c,0x01,0x1b,0x00,0xff]

v_max3_f32_e64_dpp v5, v1, v2, v3 mul:4 quad_perm:[3,2,1,0]
// GFX11: v_max3_f32_e64_dpp v5, v1, v2, v3 mul:4 quad_perm:[3,2,1,0] row_mask:0xf bank_mask:0xf ; encoding: [0x05,0x00,0x1c,0xd6,0xfa,0x04,0x0e,0x14,0x01,0x1b,0x00,0xff]

v_max3_f32_e64_dpp v5, v1, v2, v3 quad_perm:[3,2,1,0] row_mask:0x0 bank_mask:0x1
// GFX11: v_max3_f32_e64_dpp v5, v1, v2, v3 quad_perm:[3,2,1,0] row_mask:0x0 bank_mask:0x1 ; encoding: [0x05,0x00,0x1c,0xd6,0xfa,0x04,0x0e,0x04,0x01,0x1b,0x00,0x01]

v_max3_f32_e64_dpp v5, v1, v2, v3 quad_perm:[3,2,1,0] row_mask:0x3 bank_mask:0x0
// GFX11: v_max3_f32_e64_dpp v5, v1, v2, v3 quad_perm:[3,2,1,0] row_mask:0x3 bank_mask:0x0 ; encoding: [0x05,0x00,0x1c,0xd6,0xfa,0x04,0x0e,0x04,0x01,0x1b,0x00,0x30]
	;; [unrolled: 3-line block ×3, first 2 shown]

v_max3_f32_e64_dpp v5, v1, v2, v3 clamp quad_perm:[3,2,1,0]
// GFX11: v_max3_f32_e64_dpp v5, v1, v2, v3 clamp quad_perm:[3,2,1,0] row_mask:0xf bank_mask:0xf ; encoding: [0x05,0x80,0x1c,0xd6,0xfa,0x04,0x0e,0x04,0x01,0x1b,0x00,0xff]

v_max3_i16_e64_dpp v5.l, v1.l, v2.l, v3.l quad_perm:[3,2,1,0]
// GFX11: v_max3_i16_e64_dpp v5.l, v1.l, v2.l, v3.l quad_perm:[3,2,1,0] row_mask:0xf bank_mask:0xf ; encoding: [0x05,0x00,0x4d,0xd6,0xfa,0x04,0x0e,0x04,0x01,0x1b,0x00,0xff]

v_max3_i16_e64_dpp v255.l, v255.l, v255.l, v255.l quad_perm:[3,2,1,0]
// GFX11: v_max3_i16_e64_dpp v255.l, v255.l, v255.l, v255.l quad_perm:[3,2,1,0] row_mask:0xf bank_mask:0xf ; encoding: [0xff,0x00,0x4d,0xd6,0xfa,0xfe,0xff,0x07,0xff,0x1b,0x00,0xff]

v_max3_i16_e64_dpp v5.l, v1.l, v2.l, -1 quad_perm:[3,2,1,0]
// GFX11: v_max3_i16_e64_dpp v5.l, v1.l, v2.l, -1 quad_perm:[3,2,1,0] row_mask:0xf bank_mask:0xf ; encoding: [0x05,0x00,0x4d,0xd6,0xfa,0x04,0x06,0x03,0x01,0x1b,0x00,0xff]

v_max3_i16_e64_dpp v5.l, v1.l, v2.l, 0.5 quad_perm:[3,2,1,0]
// GFX11: v_max3_i16_e64_dpp v5.l, v1.l, v2.l, 0.5 quad_perm:[3,2,1,0] row_mask:0xf bank_mask:0xf ; encoding: [0x05,0x00,0x4d,0xd6,0xfa,0x04,0xc2,0x03,0x01,0x1b,0x00,0xff]

v_max3_i16_e64_dpp v5.l, v1.l, v2.l, exec_hi quad_perm:[3,2,1,0]
// GFX11: v_max3_i16_e64_dpp v5.l, v1.l, v2.l, exec_hi quad_perm:[3,2,1,0] row_mask:0xf bank_mask:0xf ; encoding: [0x05,0x00,0x4d,0xd6,0xfa,0x04,0xfe,0x01,0x01,0x1b,0x00,0xff]

v_max3_i16_e64_dpp v5.l, v1.l, v2.l, exec_lo quad_perm:[3,2,1,0]
// GFX11: v_max3_i16_e64_dpp v5.l, v1.l, v2.l, exec_lo quad_perm:[3,2,1,0] row_mask:0xf bank_mask:0xf ; encoding: [0x05,0x00,0x4d,0xd6,0xfa,0x04,0xfa,0x01,0x01,0x1b,0x00,0xff]

v_max3_i16_e64_dpp v5.l, v1.l, v2.l, m0 quad_perm:[3,2,1,0]
// GFX11: v_max3_i16_e64_dpp v5.l, v1.l, v2.l, m0 quad_perm:[3,2,1,0] row_mask:0xf bank_mask:0xf ; encoding: [0x05,0x00,0x4d,0xd6,0xfa,0x04,0xf6,0x01,0x01,0x1b,0x00,0xff]

v_max3_i16_e64_dpp v5.l, v1.l, v2.l, null quad_perm:[3,2,1,0]
// GFX11: v_max3_i16_e64_dpp v5.l, v1.l, v2.l, null quad_perm:[3,2,1,0] row_mask:0xf bank_mask:0xf ; encoding: [0x05,0x00,0x4d,0xd6,0xfa,0x04,0xf2,0x01,0x01,0x1b,0x00,0xff]

v_max3_i16_e64_dpp v5.l, v1.l, v2.l, s105 quad_perm:[3,2,1,0]
// GFX11: v_max3_i16_e64_dpp v5.l, v1.l, v2.l, s105 quad_perm:[3,2,1,0] row_mask:0xf bank_mask:0xf ; encoding: [0x05,0x00,0x4d,0xd6,0xfa,0x04,0xa6,0x01,0x01,0x1b,0x00,0xff]

v_max3_i16_e64_dpp v5.l, v1.l, v2.l, s3 quad_perm:[3,2,1,0]
// GFX11: v_max3_i16_e64_dpp v5.l, v1.l, v2.l, s3 quad_perm:[3,2,1,0] row_mask:0xf bank_mask:0xf ; encoding: [0x05,0x00,0x4d,0xd6,0xfa,0x04,0x0e,0x00,0x01,0x1b,0x00,0xff]

v_max3_i16_e64_dpp v5.l, v1.l, v2.l, src_scc quad_perm:[3,2,1,0]
// GFX11: v_max3_i16_e64_dpp v5.l, v1.l, v2.l, src_scc quad_perm:[3,2,1,0] row_mask:0xf bank_mask:0xf ; encoding: [0x05,0x00,0x4d,0xd6,0xfa,0x04,0xf6,0x03,0x01,0x1b,0x00,0xff]

v_max3_i16_e64_dpp v5.l, v1.l, v2.l, ttmp15 quad_perm:[3,2,1,0]
// GFX11: v_max3_i16_e64_dpp v5.l, v1.l, v2.l, ttmp15 quad_perm:[3,2,1,0] row_mask:0xf bank_mask:0xf ; encoding: [0x05,0x00,0x4d,0xd6,0xfa,0x04,0xee,0x01,0x01,0x1b,0x00,0xff]

v_max3_i16_e64_dpp v5.l, v1.l, v2.l, v255.h quad_perm:[3,2,1,0]
// GFX11: v_max3_i16_e64_dpp v5.l, v1.l, v2.l, v255.h op_sel:[0,0,1,0] quad_perm:[3,2,1,0] row_mask:0xf bank_mask:0xf ; encoding: [0x05,0x20,0x4d,0xd6,0xfa,0x04,0xfe,0x07,0x01,0x1b,0x00,0xff]

v_max3_i16_e64_dpp v5.l, v1.l, v2.l, v255.l quad_perm:[3,2,1,0]
// GFX11: v_max3_i16_e64_dpp v5.l, v1.l, v2.l, v255.l quad_perm:[3,2,1,0] row_mask:0xf bank_mask:0xf ; encoding: [0x05,0x00,0x4d,0xd6,0xfa,0x04,0xfe,0x07,0x01,0x1b,0x00,0xff]

v_max3_i16_e64_dpp v5.l, v1.l, v2.l, v3.h quad_perm:[3,2,1,0]
// GFX11: v_max3_i16_e64_dpp v5.l, v1.l, v2.l, v3.h op_sel:[0,0,1,0] quad_perm:[3,2,1,0] row_mask:0xf bank_mask:0xf ; encoding: [0x05,0x20,0x4d,0xd6,0xfa,0x04,0x0e,0x04,0x01,0x1b,0x00,0xff]

v_max3_i16_e64_dpp v5.l, v1.l, v2.l, vcc_hi quad_perm:[3,2,1,0]
// GFX11: v_max3_i16_e64_dpp v5.l, v1.l, v2.l, vcc_hi quad_perm:[3,2,1,0] row_mask:0xf bank_mask:0xf ; encoding: [0x05,0x00,0x4d,0xd6,0xfa,0x04,0xae,0x01,0x01,0x1b,0x00,0xff]

v_max3_i16_e64_dpp v5.l, v1.l, v2.l, vcc_lo quad_perm:[3,2,1,0]
// GFX11: v_max3_i16_e64_dpp v5.l, v1.l, v2.l, vcc_lo quad_perm:[3,2,1,0] row_mask:0xf bank_mask:0xf ; encoding: [0x05,0x00,0x4d,0xd6,0xfa,0x04,0xaa,0x01,0x01,0x1b,0x00,0xff]

v_max3_i16_e64_dpp v5.l, v1.h, v2.l, v3.l op_sel:[1,0,0,0] quad_perm:[3,2,1,0]
// GFX11: v_max3_i16_e64_dpp v5.l, v1.h, v2.l, v3.l op_sel:[1,0,0,0] quad_perm:[3,2,1,0] row_mask:0xf bank_mask:0xf ; encoding: [0x05,0x08,0x4d,0xd6,0xfa,0x04,0x0e,0x04,0x01,0x1b,0x00,0xff]

v_max3_i16_e64_dpp v5.l, v1.l, v2.h, v3.l op_sel:[0,1,0,0] quad_perm:[3,2,1,0]
// GFX11: v_max3_i16_e64_dpp v5.l, v1.l, v2.h, v3.l op_sel:[0,1,0,0] quad_perm:[3,2,1,0] row_mask:0xf bank_mask:0xf ; encoding: [0x05,0x10,0x4d,0xd6,0xfa,0x04,0x0e,0x04,0x01,0x1b,0x00,0xff]

v_max3_i16_e64_dpp v5.l, v1.l, v2.l, v3.h op_sel:[0,0,1,0] quad_perm:[3,2,1,0]
// GFX11: v_max3_i16_e64_dpp v5.l, v1.l, v2.l, v3.h op_sel:[0,0,1,0] quad_perm:[3,2,1,0] row_mask:0xf bank_mask:0xf ; encoding: [0x05,0x20,0x4d,0xd6,0xfa,0x04,0x0e,0x04,0x01,0x1b,0x00,0xff]

v_max3_i16_e64_dpp v5.l, v1.l, v2.l, v3.l quad_perm:[3,2,1,0] bound_ctrl:0
// GFX11: v_max3_i16_e64_dpp v5.l, v1.l, v2.l, v3.l quad_perm:[3,2,1,0] row_mask:0xf bank_mask:0xf ; encoding: [0x05,0x00,0x4d,0xd6,0xfa,0x04,0x0e,0x04,0x01,0x1b,0x00,0xff]

v_max3_i16_e64_dpp v5.l, v1.l, v2.l, v3.l quad_perm:[3,2,1,0] bound_ctrl:1
// GFX11: v_max3_i16_e64_dpp v5.l, v1.l, v2.l, v3.l quad_perm:[3,2,1,0] row_mask:0xf bank_mask:0xf bound_ctrl:1 ; encoding: [0x05,0x00,0x4d,0xd6,0xfa,0x04,0x0e,0x04,0x01,0x1b,0x08,0xff]

v_max3_i16_e64_dpp v5.l, v1.l, v2.l, v3.l quad_perm:[0,1,2,3]
// GFX11: v_max3_i16_e64_dpp v5.l, v1.l, v2.l, v3.l quad_perm:[0,1,2,3] row_mask:0xf bank_mask:0xf ; encoding: [0x05,0x00,0x4d,0xd6,0xfa,0x04,0x0e,0x04,0x01,0xe4,0x00,0xff]

v_max3_i16_e64_dpp v5.l, v1.l, v2.l, v3.l row_half_mirror
// GFX11: v_max3_i16_e64_dpp v5.l, v1.l, v2.l, v3.l row_half_mirror row_mask:0xf bank_mask:0xf ; encoding: [0x05,0x00,0x4d,0xd6,0xfa,0x04,0x0e,0x04,0x01,0x41,0x01,0xff]

v_max3_i16_e64_dpp v5.l, v1.l, v2.l, v3.l row_mirror
// GFX11: v_max3_i16_e64_dpp v5.l, v1.l, v2.l, v3.l row_mirror row_mask:0xf bank_mask:0xf ; encoding: [0x05,0x00,0x4d,0xd6,0xfa,0x04,0x0e,0x04,0x01,0x40,0x01,0xff]

v_max3_i16_e64_dpp v5.l, v1.l, v2.l, v3.l row_ror:1
// GFX11: v_max3_i16_e64_dpp v5.l, v1.l, v2.l, v3.l row_ror:1 row_mask:0xf bank_mask:0xf ; encoding: [0x05,0x00,0x4d,0xd6,0xfa,0x04,0x0e,0x04,0x01,0x21,0x01,0xff]

v_max3_i16_e64_dpp v5.l, v1.l, v2.l, v3.l row_ror:15
// GFX11: v_max3_i16_e64_dpp v5.l, v1.l, v2.l, v3.l row_ror:15 row_mask:0xf bank_mask:0xf ; encoding: [0x05,0x00,0x4d,0xd6,0xfa,0x04,0x0e,0x04,0x01,0x2f,0x01,0xff]

v_max3_i16_e64_dpp v5.l, v1.l, v2.l, v3.l row_share:0
// GFX11: v_max3_i16_e64_dpp v5.l, v1.l, v2.l, v3.l row_share:0 row_mask:0xf bank_mask:0xf ; encoding: [0x05,0x00,0x4d,0xd6,0xfa,0x04,0x0e,0x04,0x01,0x50,0x01,0xff]

v_max3_i16_e64_dpp v5.l, v1.l, v2.l, v3.l row_share:15
// GFX11: v_max3_i16_e64_dpp v5.l, v1.l, v2.l, v3.l row_share:15 row_mask:0xf bank_mask:0xf ; encoding: [0x05,0x00,0x4d,0xd6,0xfa,0x04,0x0e,0x04,0x01,0x5f,0x01,0xff]

v_max3_i16_e64_dpp v5.l, v1.l, v2.l, v3.l row_shl:1
// GFX11: v_max3_i16_e64_dpp v5.l, v1.l, v2.l, v3.l row_shl:1 row_mask:0xf bank_mask:0xf ; encoding: [0x05,0x00,0x4d,0xd6,0xfa,0x04,0x0e,0x04,0x01,0x01,0x01,0xff]

v_max3_i16_e64_dpp v5.l, v1.l, v2.l, v3.l row_shl:15
// GFX11: v_max3_i16_e64_dpp v5.l, v1.l, v2.l, v3.l row_shl:15 row_mask:0xf bank_mask:0xf ; encoding: [0x05,0x00,0x4d,0xd6,0xfa,0x04,0x0e,0x04,0x01,0x0f,0x01,0xff]

v_max3_i16_e64_dpp v5.l, v1.l, v2.l, v3.l row_shr:1
// GFX11: v_max3_i16_e64_dpp v5.l, v1.l, v2.l, v3.l row_shr:1 row_mask:0xf bank_mask:0xf ; encoding: [0x05,0x00,0x4d,0xd6,0xfa,0x04,0x0e,0x04,0x01,0x11,0x01,0xff]

v_max3_i16_e64_dpp v5.l, v1.l, v2.l, v3.l row_shr:15
// GFX11: v_max3_i16_e64_dpp v5.l, v1.l, v2.l, v3.l row_shr:15 row_mask:0xf bank_mask:0xf ; encoding: [0x05,0x00,0x4d,0xd6,0xfa,0x04,0x0e,0x04,0x01,0x1f,0x01,0xff]

v_max3_i16_e64_dpp v5.l, v1.l, v2.l, v3.l row_xmask:0
// GFX11: v_max3_i16_e64_dpp v5.l, v1.l, v2.l, v3.l row_xmask:0 row_mask:0xf bank_mask:0xf ; encoding: [0x05,0x00,0x4d,0xd6,0xfa,0x04,0x0e,0x04,0x01,0x60,0x01,0xff]

v_max3_i16_e64_dpp v5.l, v1.l, v2.l, v3.l row_xmask:15
// GFX11: v_max3_i16_e64_dpp v5.l, v1.l, v2.l, v3.l row_xmask:15 row_mask:0xf bank_mask:0xf ; encoding: [0x05,0x00,0x4d,0xd6,0xfa,0x04,0x0e,0x04,0x01,0x6f,0x01,0xff]

v_max3_i16_e64_dpp v5.l, v1.l, v2.l, v3.l quad_perm:[3,2,1,0] fi:0
// GFX11: v_max3_i16_e64_dpp v5.l, v1.l, v2.l, v3.l quad_perm:[3,2,1,0] row_mask:0xf bank_mask:0xf ; encoding: [0x05,0x00,0x4d,0xd6,0xfa,0x04,0x0e,0x04,0x01,0x1b,0x00,0xff]

v_max3_i16_e64_dpp v5.l, v1.l, v2.l, v3.l quad_perm:[3,2,1,0] fi:1
// GFX11: v_max3_i16_e64_dpp v5.l, v1.l, v2.l, v3.l quad_perm:[3,2,1,0] row_mask:0xf bank_mask:0xf fi:1 ; encoding: [0x05,0x00,0x4d,0xd6,0xfa,0x04,0x0e,0x04,0x01,0x1b,0x04,0xff]

v_max3_i16_e64_dpp v5.l, v1.l, v2.l, v3.l quad_perm:[3,2,1,0] row_mask:0x0 bank_mask:0x1
// GFX11: v_max3_i16_e64_dpp v5.l, v1.l, v2.l, v3.l quad_perm:[3,2,1,0] row_mask:0x0 bank_mask:0x1 ; encoding: [0x05,0x00,0x4d,0xd6,0xfa,0x04,0x0e,0x04,0x01,0x1b,0x00,0x01]

v_max3_i16_e64_dpp v5.l, v1.l, v2.l, v3.l quad_perm:[3,2,1,0] row_mask:0x3 bank_mask:0x0
// GFX11: v_max3_i16_e64_dpp v5.l, v1.l, v2.l, v3.l quad_perm:[3,2,1,0] row_mask:0x3 bank_mask:0x0 ; encoding: [0x05,0x00,0x4d,0xd6,0xfa,0x04,0x0e,0x04,0x01,0x1b,0x00,0x30]
	;; [unrolled: 3-line block ×3, first 2 shown]

v_max3_i32_e64_dpp v5, v1, v2, v3 quad_perm:[3,2,1,0]
// GFX11: v_max3_i32_e64_dpp v5, v1, v2, v3 quad_perm:[3,2,1,0] row_mask:0xf bank_mask:0xf ; encoding: [0x05,0x00,0x1d,0xd6,0xfa,0x04,0x0e,0x04,0x01,0x1b,0x00,0xff]

v_max3_i32_e64_dpp v255, v255, v255, v255 quad_perm:[3,2,1,0]
// GFX11: v_max3_i32_e64_dpp v255, v255, v255, v255 quad_perm:[3,2,1,0] row_mask:0xf bank_mask:0xf ; encoding: [0xff,0x00,0x1d,0xd6,0xfa,0xfe,0xff,0x07,0xff,0x1b,0x00,0xff]

v_max3_i32_e64_dpp v5, v1, v2, -1 quad_perm:[3,2,1,0]
// GFX11: v_max3_i32_e64_dpp v5, v1, v2, -1 quad_perm:[3,2,1,0] row_mask:0xf bank_mask:0xf ; encoding: [0x05,0x00,0x1d,0xd6,0xfa,0x04,0x06,0x03,0x01,0x1b,0x00,0xff]

v_max3_i32_e64_dpp v5, v1, v2, 0.5 quad_perm:[3,2,1,0]
// GFX11: v_max3_i32_e64_dpp v5, v1, v2, 0.5 quad_perm:[3,2,1,0] row_mask:0xf bank_mask:0xf ; encoding: [0x05,0x00,0x1d,0xd6,0xfa,0x04,0xc2,0x03,0x01,0x1b,0x00,0xff]

v_max3_i32_e64_dpp v5, v1, v2, exec_hi quad_perm:[3,2,1,0]
// GFX11: v_max3_i32_e64_dpp v5, v1, v2, exec_hi quad_perm:[3,2,1,0] row_mask:0xf bank_mask:0xf ; encoding: [0x05,0x00,0x1d,0xd6,0xfa,0x04,0xfe,0x01,0x01,0x1b,0x00,0xff]

v_max3_i32_e64_dpp v5, v1, v2, exec_lo quad_perm:[3,2,1,0]
// GFX11: v_max3_i32_e64_dpp v5, v1, v2, exec_lo quad_perm:[3,2,1,0] row_mask:0xf bank_mask:0xf ; encoding: [0x05,0x00,0x1d,0xd6,0xfa,0x04,0xfa,0x01,0x01,0x1b,0x00,0xff]

v_max3_i32_e64_dpp v5, v1, v2, m0 quad_perm:[3,2,1,0]
// GFX11: v_max3_i32_e64_dpp v5, v1, v2, m0 quad_perm:[3,2,1,0] row_mask:0xf bank_mask:0xf ; encoding: [0x05,0x00,0x1d,0xd6,0xfa,0x04,0xf6,0x01,0x01,0x1b,0x00,0xff]

v_max3_i32_e64_dpp v5, v1, v2, null quad_perm:[3,2,1,0]
// GFX11: v_max3_i32_e64_dpp v5, v1, v2, null quad_perm:[3,2,1,0] row_mask:0xf bank_mask:0xf ; encoding: [0x05,0x00,0x1d,0xd6,0xfa,0x04,0xf2,0x01,0x01,0x1b,0x00,0xff]

v_max3_i32_e64_dpp v5, v1, v2, s105 quad_perm:[3,2,1,0]
// GFX11: v_max3_i32_e64_dpp v5, v1, v2, s105 quad_perm:[3,2,1,0] row_mask:0xf bank_mask:0xf ; encoding: [0x05,0x00,0x1d,0xd6,0xfa,0x04,0xa6,0x01,0x01,0x1b,0x00,0xff]

v_max3_i32_e64_dpp v5, v1, v2, s3 quad_perm:[3,2,1,0]
// GFX11: v_max3_i32_e64_dpp v5, v1, v2, s3 quad_perm:[3,2,1,0] row_mask:0xf bank_mask:0xf ; encoding: [0x05,0x00,0x1d,0xd6,0xfa,0x04,0x0e,0x00,0x01,0x1b,0x00,0xff]

v_max3_i32_e64_dpp v5, v1, v2, src_scc quad_perm:[3,2,1,0]
// GFX11: v_max3_i32_e64_dpp v5, v1, v2, src_scc quad_perm:[3,2,1,0] row_mask:0xf bank_mask:0xf ; encoding: [0x05,0x00,0x1d,0xd6,0xfa,0x04,0xf6,0x03,0x01,0x1b,0x00,0xff]

v_max3_i32_e64_dpp v5, v1, v2, ttmp15 quad_perm:[3,2,1,0]
// GFX11: v_max3_i32_e64_dpp v5, v1, v2, ttmp15 quad_perm:[3,2,1,0] row_mask:0xf bank_mask:0xf ; encoding: [0x05,0x00,0x1d,0xd6,0xfa,0x04,0xee,0x01,0x01,0x1b,0x00,0xff]

v_max3_i32_e64_dpp v5, v1, v2, v255 quad_perm:[3,2,1,0]
// GFX11: v_max3_i32_e64_dpp v5, v1, v2, v255 quad_perm:[3,2,1,0] row_mask:0xf bank_mask:0xf ; encoding: [0x05,0x00,0x1d,0xd6,0xfa,0x04,0xfe,0x07,0x01,0x1b,0x00,0xff]

v_max3_i32_e64_dpp v5, v1, v2, vcc_hi quad_perm:[3,2,1,0]
// GFX11: v_max3_i32_e64_dpp v5, v1, v2, vcc_hi quad_perm:[3,2,1,0] row_mask:0xf bank_mask:0xf ; encoding: [0x05,0x00,0x1d,0xd6,0xfa,0x04,0xae,0x01,0x01,0x1b,0x00,0xff]

v_max3_i32_e64_dpp v5, v1, v2, vcc_lo quad_perm:[3,2,1,0]
// GFX11: v_max3_i32_e64_dpp v5, v1, v2, vcc_lo quad_perm:[3,2,1,0] row_mask:0xf bank_mask:0xf ; encoding: [0x05,0x00,0x1d,0xd6,0xfa,0x04,0xaa,0x01,0x01,0x1b,0x00,0xff]

v_max3_i32_e64_dpp v5, v1, v2, v3 quad_perm:[3,2,1,0] bound_ctrl:0
// GFX11: v_max3_i32_e64_dpp v5, v1, v2, v3 quad_perm:[3,2,1,0] row_mask:0xf bank_mask:0xf ; encoding: [0x05,0x00,0x1d,0xd6,0xfa,0x04,0x0e,0x04,0x01,0x1b,0x00,0xff]

v_max3_i32_e64_dpp v5, v1, v2, v3 quad_perm:[3,2,1,0] bound_ctrl:1
// GFX11: v_max3_i32_e64_dpp v5, v1, v2, v3 quad_perm:[3,2,1,0] row_mask:0xf bank_mask:0xf bound_ctrl:1 ; encoding: [0x05,0x00,0x1d,0xd6,0xfa,0x04,0x0e,0x04,0x01,0x1b,0x08,0xff]

v_max3_i32_e64_dpp v5, v1, v2, v3 quad_perm:[0,1,2,3]
// GFX11: v_max3_i32_e64_dpp v5, v1, v2, v3 quad_perm:[0,1,2,3] row_mask:0xf bank_mask:0xf ; encoding: [0x05,0x00,0x1d,0xd6,0xfa,0x04,0x0e,0x04,0x01,0xe4,0x00,0xff]

v_max3_i32_e64_dpp v5, v1, v2, v3 row_half_mirror
// GFX11: v_max3_i32_e64_dpp v5, v1, v2, v3 row_half_mirror row_mask:0xf bank_mask:0xf ; encoding: [0x05,0x00,0x1d,0xd6,0xfa,0x04,0x0e,0x04,0x01,0x41,0x01,0xff]

v_max3_i32_e64_dpp v5, v1, v2, v3 row_mirror
// GFX11: v_max3_i32_e64_dpp v5, v1, v2, v3 row_mirror row_mask:0xf bank_mask:0xf ; encoding: [0x05,0x00,0x1d,0xd6,0xfa,0x04,0x0e,0x04,0x01,0x40,0x01,0xff]

v_max3_i32_e64_dpp v5, v1, v2, v3 row_ror:1
// GFX11: v_max3_i32_e64_dpp v5, v1, v2, v3 row_ror:1 row_mask:0xf bank_mask:0xf ; encoding: [0x05,0x00,0x1d,0xd6,0xfa,0x04,0x0e,0x04,0x01,0x21,0x01,0xff]

v_max3_i32_e64_dpp v5, v1, v2, v3 row_ror:15
// GFX11: v_max3_i32_e64_dpp v5, v1, v2, v3 row_ror:15 row_mask:0xf bank_mask:0xf ; encoding: [0x05,0x00,0x1d,0xd6,0xfa,0x04,0x0e,0x04,0x01,0x2f,0x01,0xff]

v_max3_i32_e64_dpp v5, v1, v2, v3 row_share:0
// GFX11: v_max3_i32_e64_dpp v5, v1, v2, v3 row_share:0 row_mask:0xf bank_mask:0xf ; encoding: [0x05,0x00,0x1d,0xd6,0xfa,0x04,0x0e,0x04,0x01,0x50,0x01,0xff]

v_max3_i32_e64_dpp v5, v1, v2, v3 row_share:15
// GFX11: v_max3_i32_e64_dpp v5, v1, v2, v3 row_share:15 row_mask:0xf bank_mask:0xf ; encoding: [0x05,0x00,0x1d,0xd6,0xfa,0x04,0x0e,0x04,0x01,0x5f,0x01,0xff]

v_max3_i32_e64_dpp v5, v1, v2, v3 row_shl:1
// GFX11: v_max3_i32_e64_dpp v5, v1, v2, v3 row_shl:1 row_mask:0xf bank_mask:0xf ; encoding: [0x05,0x00,0x1d,0xd6,0xfa,0x04,0x0e,0x04,0x01,0x01,0x01,0xff]

v_max3_i32_e64_dpp v5, v1, v2, v3 row_shl:15
// GFX11: v_max3_i32_e64_dpp v5, v1, v2, v3 row_shl:15 row_mask:0xf bank_mask:0xf ; encoding: [0x05,0x00,0x1d,0xd6,0xfa,0x04,0x0e,0x04,0x01,0x0f,0x01,0xff]

v_max3_i32_e64_dpp v5, v1, v2, v3 row_shr:1
// GFX11: v_max3_i32_e64_dpp v5, v1, v2, v3 row_shr:1 row_mask:0xf bank_mask:0xf ; encoding: [0x05,0x00,0x1d,0xd6,0xfa,0x04,0x0e,0x04,0x01,0x11,0x01,0xff]

v_max3_i32_e64_dpp v5, v1, v2, v3 row_shr:15
// GFX11: v_max3_i32_e64_dpp v5, v1, v2, v3 row_shr:15 row_mask:0xf bank_mask:0xf ; encoding: [0x05,0x00,0x1d,0xd6,0xfa,0x04,0x0e,0x04,0x01,0x1f,0x01,0xff]

v_max3_i32_e64_dpp v5, v1, v2, v3 row_xmask:0
// GFX11: v_max3_i32_e64_dpp v5, v1, v2, v3 row_xmask:0 row_mask:0xf bank_mask:0xf ; encoding: [0x05,0x00,0x1d,0xd6,0xfa,0x04,0x0e,0x04,0x01,0x60,0x01,0xff]

v_max3_i32_e64_dpp v5, v1, v2, v3 row_xmask:15
// GFX11: v_max3_i32_e64_dpp v5, v1, v2, v3 row_xmask:15 row_mask:0xf bank_mask:0xf ; encoding: [0x05,0x00,0x1d,0xd6,0xfa,0x04,0x0e,0x04,0x01,0x6f,0x01,0xff]

v_max3_i32_e64_dpp v5, v1, v2, v3 quad_perm:[3,2,1,0] fi:0
// GFX11: v_max3_i32_e64_dpp v5, v1, v2, v3 quad_perm:[3,2,1,0] row_mask:0xf bank_mask:0xf ; encoding: [0x05,0x00,0x1d,0xd6,0xfa,0x04,0x0e,0x04,0x01,0x1b,0x00,0xff]

v_max3_i32_e64_dpp v5, v1, v2, v3 quad_perm:[3,2,1,0] fi:1
// GFX11: v_max3_i32_e64_dpp v5, v1, v2, v3 quad_perm:[3,2,1,0] row_mask:0xf bank_mask:0xf fi:1 ; encoding: [0x05,0x00,0x1d,0xd6,0xfa,0x04,0x0e,0x04,0x01,0x1b,0x04,0xff]

v_max3_i32_e64_dpp v5, v1, v2, v3 quad_perm:[3,2,1,0] row_mask:0x0 bank_mask:0x1
// GFX11: v_max3_i32_e64_dpp v5, v1, v2, v3 quad_perm:[3,2,1,0] row_mask:0x0 bank_mask:0x1 ; encoding: [0x05,0x00,0x1d,0xd6,0xfa,0x04,0x0e,0x04,0x01,0x1b,0x00,0x01]

v_max3_i32_e64_dpp v5, v1, v2, v3 quad_perm:[3,2,1,0] row_mask:0x3 bank_mask:0x0
// GFX11: v_max3_i32_e64_dpp v5, v1, v2, v3 quad_perm:[3,2,1,0] row_mask:0x3 bank_mask:0x0 ; encoding: [0x05,0x00,0x1d,0xd6,0xfa,0x04,0x0e,0x04,0x01,0x1b,0x00,0x30]

v_max3_i32_e64_dpp v5, v1, v2, v3 quad_perm:[3,2,1,0] row_mask:0xf bank_mask:0xf
// GFX11: v_max3_i32_e64_dpp v5, v1, v2, v3 quad_perm:[3,2,1,0] row_mask:0xf bank_mask:0xf ; encoding: [0x05,0x00,0x1d,0xd6,0xfa,0x04,0x0e,0x04,0x01,0x1b,0x00,0xff]

v_max3_u16_e64_dpp v5.l, v1.l, v2.l, v3.l quad_perm:[3,2,1,0]
// GFX11: v_max3_u16_e64_dpp v5.l, v1.l, v2.l, v3.l quad_perm:[3,2,1,0] row_mask:0xf bank_mask:0xf ; encoding: [0x05,0x00,0x4e,0xd6,0xfa,0x04,0x0e,0x04,0x01,0x1b,0x00,0xff]

v_max3_u16_e64_dpp v255.l, v255.l, v255.l, v255.l quad_perm:[3,2,1,0]
// GFX11: v_max3_u16_e64_dpp v255.l, v255.l, v255.l, v255.l quad_perm:[3,2,1,0] row_mask:0xf bank_mask:0xf ; encoding: [0xff,0x00,0x4e,0xd6,0xfa,0xfe,0xff,0x07,0xff,0x1b,0x00,0xff]

v_max3_u16_e64_dpp v5.l, v1.l, v2.l, -1 quad_perm:[3,2,1,0]
// GFX11: v_max3_u16_e64_dpp v5.l, v1.l, v2.l, -1 quad_perm:[3,2,1,0] row_mask:0xf bank_mask:0xf ; encoding: [0x05,0x00,0x4e,0xd6,0xfa,0x04,0x06,0x03,0x01,0x1b,0x00,0xff]

v_max3_u16_e64_dpp v5.l, v1.l, v2.l, 0.5 quad_perm:[3,2,1,0]
// GFX11: v_max3_u16_e64_dpp v5.l, v1.l, v2.l, 0.5 quad_perm:[3,2,1,0] row_mask:0xf bank_mask:0xf ; encoding: [0x05,0x00,0x4e,0xd6,0xfa,0x04,0xc2,0x03,0x01,0x1b,0x00,0xff]

v_max3_u16_e64_dpp v5.l, v1.l, v2.l, exec_hi quad_perm:[3,2,1,0]
// GFX11: v_max3_u16_e64_dpp v5.l, v1.l, v2.l, exec_hi quad_perm:[3,2,1,0] row_mask:0xf bank_mask:0xf ; encoding: [0x05,0x00,0x4e,0xd6,0xfa,0x04,0xfe,0x01,0x01,0x1b,0x00,0xff]

v_max3_u16_e64_dpp v5.l, v1.l, v2.l, exec_lo quad_perm:[3,2,1,0]
// GFX11: v_max3_u16_e64_dpp v5.l, v1.l, v2.l, exec_lo quad_perm:[3,2,1,0] row_mask:0xf bank_mask:0xf ; encoding: [0x05,0x00,0x4e,0xd6,0xfa,0x04,0xfa,0x01,0x01,0x1b,0x00,0xff]

v_max3_u16_e64_dpp v5.l, v1.l, v2.l, m0 quad_perm:[3,2,1,0]
// GFX11: v_max3_u16_e64_dpp v5.l, v1.l, v2.l, m0 quad_perm:[3,2,1,0] row_mask:0xf bank_mask:0xf ; encoding: [0x05,0x00,0x4e,0xd6,0xfa,0x04,0xf6,0x01,0x01,0x1b,0x00,0xff]

v_max3_u16_e64_dpp v5.l, v1.l, v2.l, null quad_perm:[3,2,1,0]
// GFX11: v_max3_u16_e64_dpp v5.l, v1.l, v2.l, null quad_perm:[3,2,1,0] row_mask:0xf bank_mask:0xf ; encoding: [0x05,0x00,0x4e,0xd6,0xfa,0x04,0xf2,0x01,0x01,0x1b,0x00,0xff]

v_max3_u16_e64_dpp v5.l, v1.l, v2.l, s105 quad_perm:[3,2,1,0]
// GFX11: v_max3_u16_e64_dpp v5.l, v1.l, v2.l, s105 quad_perm:[3,2,1,0] row_mask:0xf bank_mask:0xf ; encoding: [0x05,0x00,0x4e,0xd6,0xfa,0x04,0xa6,0x01,0x01,0x1b,0x00,0xff]

v_max3_u16_e64_dpp v5.l, v1.l, v2.l, s3 quad_perm:[3,2,1,0]
// GFX11: v_max3_u16_e64_dpp v5.l, v1.l, v2.l, s3 quad_perm:[3,2,1,0] row_mask:0xf bank_mask:0xf ; encoding: [0x05,0x00,0x4e,0xd6,0xfa,0x04,0x0e,0x00,0x01,0x1b,0x00,0xff]

v_max3_u16_e64_dpp v5.l, v1.l, v2.l, src_scc quad_perm:[3,2,1,0]
// GFX11: v_max3_u16_e64_dpp v5.l, v1.l, v2.l, src_scc quad_perm:[3,2,1,0] row_mask:0xf bank_mask:0xf ; encoding: [0x05,0x00,0x4e,0xd6,0xfa,0x04,0xf6,0x03,0x01,0x1b,0x00,0xff]

v_max3_u16_e64_dpp v5.l, v1.l, v2.l, ttmp15 quad_perm:[3,2,1,0]
// GFX11: v_max3_u16_e64_dpp v5.l, v1.l, v2.l, ttmp15 quad_perm:[3,2,1,0] row_mask:0xf bank_mask:0xf ; encoding: [0x05,0x00,0x4e,0xd6,0xfa,0x04,0xee,0x01,0x01,0x1b,0x00,0xff]

v_max3_u16_e64_dpp v5.l, v1.l, v2.l, v255.h quad_perm:[3,2,1,0]
// GFX11: v_max3_u16_e64_dpp v5.l, v1.l, v2.l, v255.h op_sel:[0,0,1,0] quad_perm:[3,2,1,0] row_mask:0xf bank_mask:0xf ; encoding: [0x05,0x20,0x4e,0xd6,0xfa,0x04,0xfe,0x07,0x01,0x1b,0x00,0xff]

v_max3_u16_e64_dpp v5.l, v1.l, v2.l, v255.l quad_perm:[3,2,1,0]
// GFX11: v_max3_u16_e64_dpp v5.l, v1.l, v2.l, v255.l quad_perm:[3,2,1,0] row_mask:0xf bank_mask:0xf ; encoding: [0x05,0x00,0x4e,0xd6,0xfa,0x04,0xfe,0x07,0x01,0x1b,0x00,0xff]

v_max3_u16_e64_dpp v5.l, v1.l, v2.l, v3.h quad_perm:[3,2,1,0]
// GFX11: v_max3_u16_e64_dpp v5.l, v1.l, v2.l, v3.h op_sel:[0,0,1,0] quad_perm:[3,2,1,0] row_mask:0xf bank_mask:0xf ; encoding: [0x05,0x20,0x4e,0xd6,0xfa,0x04,0x0e,0x04,0x01,0x1b,0x00,0xff]

v_max3_u16_e64_dpp v5.l, v1.l, v2.l, vcc_hi quad_perm:[3,2,1,0]
// GFX11: v_max3_u16_e64_dpp v5.l, v1.l, v2.l, vcc_hi quad_perm:[3,2,1,0] row_mask:0xf bank_mask:0xf ; encoding: [0x05,0x00,0x4e,0xd6,0xfa,0x04,0xae,0x01,0x01,0x1b,0x00,0xff]

v_max3_u16_e64_dpp v5.l, v1.l, v2.l, vcc_lo quad_perm:[3,2,1,0]
// GFX11: v_max3_u16_e64_dpp v5.l, v1.l, v2.l, vcc_lo quad_perm:[3,2,1,0] row_mask:0xf bank_mask:0xf ; encoding: [0x05,0x00,0x4e,0xd6,0xfa,0x04,0xaa,0x01,0x01,0x1b,0x00,0xff]

v_max3_u16_e64_dpp v5.l, v1.h, v2.l, v3.l op_sel:[1,0,0,0] quad_perm:[3,2,1,0]
// GFX11: v_max3_u16_e64_dpp v5.l, v1.h, v2.l, v3.l op_sel:[1,0,0,0] quad_perm:[3,2,1,0] row_mask:0xf bank_mask:0xf ; encoding: [0x05,0x08,0x4e,0xd6,0xfa,0x04,0x0e,0x04,0x01,0x1b,0x00,0xff]

v_max3_u16_e64_dpp v5.l, v1.l, v2.h, v3.l op_sel:[0,1,0,0] quad_perm:[3,2,1,0]
// GFX11: v_max3_u16_e64_dpp v5.l, v1.l, v2.h, v3.l op_sel:[0,1,0,0] quad_perm:[3,2,1,0] row_mask:0xf bank_mask:0xf ; encoding: [0x05,0x10,0x4e,0xd6,0xfa,0x04,0x0e,0x04,0x01,0x1b,0x00,0xff]

v_max3_u16_e64_dpp v5.l, v1.l, v2.l, v3.h op_sel:[0,0,1,0] quad_perm:[3,2,1,0]
// GFX11: v_max3_u16_e64_dpp v5.l, v1.l, v2.l, v3.h op_sel:[0,0,1,0] quad_perm:[3,2,1,0] row_mask:0xf bank_mask:0xf ; encoding: [0x05,0x20,0x4e,0xd6,0xfa,0x04,0x0e,0x04,0x01,0x1b,0x00,0xff]

v_max3_u16_e64_dpp v5.l, v1.l, v2.l, v3.l quad_perm:[3,2,1,0] bound_ctrl:0
// GFX11: v_max3_u16_e64_dpp v5.l, v1.l, v2.l, v3.l quad_perm:[3,2,1,0] row_mask:0xf bank_mask:0xf ; encoding: [0x05,0x00,0x4e,0xd6,0xfa,0x04,0x0e,0x04,0x01,0x1b,0x00,0xff]

v_max3_u16_e64_dpp v5.l, v1.l, v2.l, v3.l quad_perm:[3,2,1,0] bound_ctrl:1
// GFX11: v_max3_u16_e64_dpp v5.l, v1.l, v2.l, v3.l quad_perm:[3,2,1,0] row_mask:0xf bank_mask:0xf bound_ctrl:1 ; encoding: [0x05,0x00,0x4e,0xd6,0xfa,0x04,0x0e,0x04,0x01,0x1b,0x08,0xff]

v_max3_u16_e64_dpp v5.l, v1.l, v2.l, v3.l quad_perm:[0,1,2,3]
// GFX11: v_max3_u16_e64_dpp v5.l, v1.l, v2.l, v3.l quad_perm:[0,1,2,3] row_mask:0xf bank_mask:0xf ; encoding: [0x05,0x00,0x4e,0xd6,0xfa,0x04,0x0e,0x04,0x01,0xe4,0x00,0xff]

v_max3_u16_e64_dpp v5.l, v1.l, v2.l, v3.l row_half_mirror
// GFX11: v_max3_u16_e64_dpp v5.l, v1.l, v2.l, v3.l row_half_mirror row_mask:0xf bank_mask:0xf ; encoding: [0x05,0x00,0x4e,0xd6,0xfa,0x04,0x0e,0x04,0x01,0x41,0x01,0xff]

v_max3_u16_e64_dpp v5.l, v1.l, v2.l, v3.l row_mirror
// GFX11: v_max3_u16_e64_dpp v5.l, v1.l, v2.l, v3.l row_mirror row_mask:0xf bank_mask:0xf ; encoding: [0x05,0x00,0x4e,0xd6,0xfa,0x04,0x0e,0x04,0x01,0x40,0x01,0xff]

v_max3_u16_e64_dpp v5.l, v1.l, v2.l, v3.l row_ror:1
// GFX11: v_max3_u16_e64_dpp v5.l, v1.l, v2.l, v3.l row_ror:1 row_mask:0xf bank_mask:0xf ; encoding: [0x05,0x00,0x4e,0xd6,0xfa,0x04,0x0e,0x04,0x01,0x21,0x01,0xff]

v_max3_u16_e64_dpp v5.l, v1.l, v2.l, v3.l row_ror:15
// GFX11: v_max3_u16_e64_dpp v5.l, v1.l, v2.l, v3.l row_ror:15 row_mask:0xf bank_mask:0xf ; encoding: [0x05,0x00,0x4e,0xd6,0xfa,0x04,0x0e,0x04,0x01,0x2f,0x01,0xff]

v_max3_u16_e64_dpp v5.l, v1.l, v2.l, v3.l row_share:0
// GFX11: v_max3_u16_e64_dpp v5.l, v1.l, v2.l, v3.l row_share:0 row_mask:0xf bank_mask:0xf ; encoding: [0x05,0x00,0x4e,0xd6,0xfa,0x04,0x0e,0x04,0x01,0x50,0x01,0xff]

v_max3_u16_e64_dpp v5.l, v1.l, v2.l, v3.l row_share:15
// GFX11: v_max3_u16_e64_dpp v5.l, v1.l, v2.l, v3.l row_share:15 row_mask:0xf bank_mask:0xf ; encoding: [0x05,0x00,0x4e,0xd6,0xfa,0x04,0x0e,0x04,0x01,0x5f,0x01,0xff]

v_max3_u16_e64_dpp v5.l, v1.l, v2.l, v3.l row_shl:1
// GFX11: v_max3_u16_e64_dpp v5.l, v1.l, v2.l, v3.l row_shl:1 row_mask:0xf bank_mask:0xf ; encoding: [0x05,0x00,0x4e,0xd6,0xfa,0x04,0x0e,0x04,0x01,0x01,0x01,0xff]

v_max3_u16_e64_dpp v5.l, v1.l, v2.l, v3.l row_shl:15
// GFX11: v_max3_u16_e64_dpp v5.l, v1.l, v2.l, v3.l row_shl:15 row_mask:0xf bank_mask:0xf ; encoding: [0x05,0x00,0x4e,0xd6,0xfa,0x04,0x0e,0x04,0x01,0x0f,0x01,0xff]

v_max3_u16_e64_dpp v5.l, v1.l, v2.l, v3.l row_shr:1
// GFX11: v_max3_u16_e64_dpp v5.l, v1.l, v2.l, v3.l row_shr:1 row_mask:0xf bank_mask:0xf ; encoding: [0x05,0x00,0x4e,0xd6,0xfa,0x04,0x0e,0x04,0x01,0x11,0x01,0xff]

v_max3_u16_e64_dpp v5.l, v1.l, v2.l, v3.l row_shr:15
// GFX11: v_max3_u16_e64_dpp v5.l, v1.l, v2.l, v3.l row_shr:15 row_mask:0xf bank_mask:0xf ; encoding: [0x05,0x00,0x4e,0xd6,0xfa,0x04,0x0e,0x04,0x01,0x1f,0x01,0xff]

v_max3_u16_e64_dpp v5.l, v1.l, v2.l, v3.l row_xmask:0
// GFX11: v_max3_u16_e64_dpp v5.l, v1.l, v2.l, v3.l row_xmask:0 row_mask:0xf bank_mask:0xf ; encoding: [0x05,0x00,0x4e,0xd6,0xfa,0x04,0x0e,0x04,0x01,0x60,0x01,0xff]

v_max3_u16_e64_dpp v5.l, v1.l, v2.l, v3.l row_xmask:15
// GFX11: v_max3_u16_e64_dpp v5.l, v1.l, v2.l, v3.l row_xmask:15 row_mask:0xf bank_mask:0xf ; encoding: [0x05,0x00,0x4e,0xd6,0xfa,0x04,0x0e,0x04,0x01,0x6f,0x01,0xff]

v_max3_u16_e64_dpp v5.l, v1.l, v2.l, v3.l quad_perm:[3,2,1,0] fi:0
// GFX11: v_max3_u16_e64_dpp v5.l, v1.l, v2.l, v3.l quad_perm:[3,2,1,0] row_mask:0xf bank_mask:0xf ; encoding: [0x05,0x00,0x4e,0xd6,0xfa,0x04,0x0e,0x04,0x01,0x1b,0x00,0xff]

v_max3_u16_e64_dpp v5.l, v1.l, v2.l, v3.l quad_perm:[3,2,1,0] fi:1
// GFX11: v_max3_u16_e64_dpp v5.l, v1.l, v2.l, v3.l quad_perm:[3,2,1,0] row_mask:0xf bank_mask:0xf fi:1 ; encoding: [0x05,0x00,0x4e,0xd6,0xfa,0x04,0x0e,0x04,0x01,0x1b,0x04,0xff]

v_max3_u16_e64_dpp v5.l, v1.l, v2.l, v3.l quad_perm:[3,2,1,0] row_mask:0x0 bank_mask:0x1
// GFX11: v_max3_u16_e64_dpp v5.l, v1.l, v2.l, v3.l quad_perm:[3,2,1,0] row_mask:0x0 bank_mask:0x1 ; encoding: [0x05,0x00,0x4e,0xd6,0xfa,0x04,0x0e,0x04,0x01,0x1b,0x00,0x01]

v_max3_u16_e64_dpp v5.l, v1.l, v2.l, v3.l quad_perm:[3,2,1,0] row_mask:0x3 bank_mask:0x0
// GFX11: v_max3_u16_e64_dpp v5.l, v1.l, v2.l, v3.l quad_perm:[3,2,1,0] row_mask:0x3 bank_mask:0x0 ; encoding: [0x05,0x00,0x4e,0xd6,0xfa,0x04,0x0e,0x04,0x01,0x1b,0x00,0x30]
	;; [unrolled: 3-line block ×3, first 2 shown]

v_max3_u32_e64_dpp v5, v1, v2, v3 quad_perm:[3,2,1,0]
// GFX11: v_max3_u32_e64_dpp v5, v1, v2, v3 quad_perm:[3,2,1,0] row_mask:0xf bank_mask:0xf ; encoding: [0x05,0x00,0x1e,0xd6,0xfa,0x04,0x0e,0x04,0x01,0x1b,0x00,0xff]

v_max3_u32_e64_dpp v255, v255, v255, v255 quad_perm:[3,2,1,0]
// GFX11: v_max3_u32_e64_dpp v255, v255, v255, v255 quad_perm:[3,2,1,0] row_mask:0xf bank_mask:0xf ; encoding: [0xff,0x00,0x1e,0xd6,0xfa,0xfe,0xff,0x07,0xff,0x1b,0x00,0xff]

v_max3_u32_e64_dpp v5, v1, v2, -1 quad_perm:[3,2,1,0]
// GFX11: v_max3_u32_e64_dpp v5, v1, v2, -1 quad_perm:[3,2,1,0] row_mask:0xf bank_mask:0xf ; encoding: [0x05,0x00,0x1e,0xd6,0xfa,0x04,0x06,0x03,0x01,0x1b,0x00,0xff]

v_max3_u32_e64_dpp v5, v1, v2, 0.5 quad_perm:[3,2,1,0]
// GFX11: v_max3_u32_e64_dpp v5, v1, v2, 0.5 quad_perm:[3,2,1,0] row_mask:0xf bank_mask:0xf ; encoding: [0x05,0x00,0x1e,0xd6,0xfa,0x04,0xc2,0x03,0x01,0x1b,0x00,0xff]

v_max3_u32_e64_dpp v5, v1, v2, exec_hi quad_perm:[3,2,1,0]
// GFX11: v_max3_u32_e64_dpp v5, v1, v2, exec_hi quad_perm:[3,2,1,0] row_mask:0xf bank_mask:0xf ; encoding: [0x05,0x00,0x1e,0xd6,0xfa,0x04,0xfe,0x01,0x01,0x1b,0x00,0xff]

v_max3_u32_e64_dpp v5, v1, v2, exec_lo quad_perm:[3,2,1,0]
// GFX11: v_max3_u32_e64_dpp v5, v1, v2, exec_lo quad_perm:[3,2,1,0] row_mask:0xf bank_mask:0xf ; encoding: [0x05,0x00,0x1e,0xd6,0xfa,0x04,0xfa,0x01,0x01,0x1b,0x00,0xff]

v_max3_u32_e64_dpp v5, v1, v2, m0 quad_perm:[3,2,1,0]
// GFX11: v_max3_u32_e64_dpp v5, v1, v2, m0 quad_perm:[3,2,1,0] row_mask:0xf bank_mask:0xf ; encoding: [0x05,0x00,0x1e,0xd6,0xfa,0x04,0xf6,0x01,0x01,0x1b,0x00,0xff]

v_max3_u32_e64_dpp v5, v1, v2, null quad_perm:[3,2,1,0]
// GFX11: v_max3_u32_e64_dpp v5, v1, v2, null quad_perm:[3,2,1,0] row_mask:0xf bank_mask:0xf ; encoding: [0x05,0x00,0x1e,0xd6,0xfa,0x04,0xf2,0x01,0x01,0x1b,0x00,0xff]

v_max3_u32_e64_dpp v5, v1, v2, s105 quad_perm:[3,2,1,0]
// GFX11: v_max3_u32_e64_dpp v5, v1, v2, s105 quad_perm:[3,2,1,0] row_mask:0xf bank_mask:0xf ; encoding: [0x05,0x00,0x1e,0xd6,0xfa,0x04,0xa6,0x01,0x01,0x1b,0x00,0xff]

v_max3_u32_e64_dpp v5, v1, v2, s3 quad_perm:[3,2,1,0]
// GFX11: v_max3_u32_e64_dpp v5, v1, v2, s3 quad_perm:[3,2,1,0] row_mask:0xf bank_mask:0xf ; encoding: [0x05,0x00,0x1e,0xd6,0xfa,0x04,0x0e,0x00,0x01,0x1b,0x00,0xff]

v_max3_u32_e64_dpp v5, v1, v2, src_scc quad_perm:[3,2,1,0]
// GFX11: v_max3_u32_e64_dpp v5, v1, v2, src_scc quad_perm:[3,2,1,0] row_mask:0xf bank_mask:0xf ; encoding: [0x05,0x00,0x1e,0xd6,0xfa,0x04,0xf6,0x03,0x01,0x1b,0x00,0xff]

v_max3_u32_e64_dpp v5, v1, v2, ttmp15 quad_perm:[3,2,1,0]
// GFX11: v_max3_u32_e64_dpp v5, v1, v2, ttmp15 quad_perm:[3,2,1,0] row_mask:0xf bank_mask:0xf ; encoding: [0x05,0x00,0x1e,0xd6,0xfa,0x04,0xee,0x01,0x01,0x1b,0x00,0xff]

v_max3_u32_e64_dpp v5, v1, v2, v255 quad_perm:[3,2,1,0]
// GFX11: v_max3_u32_e64_dpp v5, v1, v2, v255 quad_perm:[3,2,1,0] row_mask:0xf bank_mask:0xf ; encoding: [0x05,0x00,0x1e,0xd6,0xfa,0x04,0xfe,0x07,0x01,0x1b,0x00,0xff]

v_max3_u32_e64_dpp v5, v1, v2, vcc_hi quad_perm:[3,2,1,0]
// GFX11: v_max3_u32_e64_dpp v5, v1, v2, vcc_hi quad_perm:[3,2,1,0] row_mask:0xf bank_mask:0xf ; encoding: [0x05,0x00,0x1e,0xd6,0xfa,0x04,0xae,0x01,0x01,0x1b,0x00,0xff]

v_max3_u32_e64_dpp v5, v1, v2, vcc_lo quad_perm:[3,2,1,0]
// GFX11: v_max3_u32_e64_dpp v5, v1, v2, vcc_lo quad_perm:[3,2,1,0] row_mask:0xf bank_mask:0xf ; encoding: [0x05,0x00,0x1e,0xd6,0xfa,0x04,0xaa,0x01,0x01,0x1b,0x00,0xff]

v_max3_u32_e64_dpp v5, v1, v2, v3 quad_perm:[3,2,1,0] bound_ctrl:0
// GFX11: v_max3_u32_e64_dpp v5, v1, v2, v3 quad_perm:[3,2,1,0] row_mask:0xf bank_mask:0xf ; encoding: [0x05,0x00,0x1e,0xd6,0xfa,0x04,0x0e,0x04,0x01,0x1b,0x00,0xff]

v_max3_u32_e64_dpp v5, v1, v2, v3 quad_perm:[3,2,1,0] bound_ctrl:1
// GFX11: v_max3_u32_e64_dpp v5, v1, v2, v3 quad_perm:[3,2,1,0] row_mask:0xf bank_mask:0xf bound_ctrl:1 ; encoding: [0x05,0x00,0x1e,0xd6,0xfa,0x04,0x0e,0x04,0x01,0x1b,0x08,0xff]

v_max3_u32_e64_dpp v5, v1, v2, v3 quad_perm:[0,1,2,3]
// GFX11: v_max3_u32_e64_dpp v5, v1, v2, v3 quad_perm:[0,1,2,3] row_mask:0xf bank_mask:0xf ; encoding: [0x05,0x00,0x1e,0xd6,0xfa,0x04,0x0e,0x04,0x01,0xe4,0x00,0xff]

v_max3_u32_e64_dpp v5, v1, v2, v3 row_half_mirror
// GFX11: v_max3_u32_e64_dpp v5, v1, v2, v3 row_half_mirror row_mask:0xf bank_mask:0xf ; encoding: [0x05,0x00,0x1e,0xd6,0xfa,0x04,0x0e,0x04,0x01,0x41,0x01,0xff]

v_max3_u32_e64_dpp v5, v1, v2, v3 row_mirror
// GFX11: v_max3_u32_e64_dpp v5, v1, v2, v3 row_mirror row_mask:0xf bank_mask:0xf ; encoding: [0x05,0x00,0x1e,0xd6,0xfa,0x04,0x0e,0x04,0x01,0x40,0x01,0xff]

v_max3_u32_e64_dpp v5, v1, v2, v3 row_ror:1
// GFX11: v_max3_u32_e64_dpp v5, v1, v2, v3 row_ror:1 row_mask:0xf bank_mask:0xf ; encoding: [0x05,0x00,0x1e,0xd6,0xfa,0x04,0x0e,0x04,0x01,0x21,0x01,0xff]

v_max3_u32_e64_dpp v5, v1, v2, v3 row_ror:15
// GFX11: v_max3_u32_e64_dpp v5, v1, v2, v3 row_ror:15 row_mask:0xf bank_mask:0xf ; encoding: [0x05,0x00,0x1e,0xd6,0xfa,0x04,0x0e,0x04,0x01,0x2f,0x01,0xff]

v_max3_u32_e64_dpp v5, v1, v2, v3 row_share:0
// GFX11: v_max3_u32_e64_dpp v5, v1, v2, v3 row_share:0 row_mask:0xf bank_mask:0xf ; encoding: [0x05,0x00,0x1e,0xd6,0xfa,0x04,0x0e,0x04,0x01,0x50,0x01,0xff]

v_max3_u32_e64_dpp v5, v1, v2, v3 row_share:15
// GFX11: v_max3_u32_e64_dpp v5, v1, v2, v3 row_share:15 row_mask:0xf bank_mask:0xf ; encoding: [0x05,0x00,0x1e,0xd6,0xfa,0x04,0x0e,0x04,0x01,0x5f,0x01,0xff]

v_max3_u32_e64_dpp v5, v1, v2, v3 row_shl:1
// GFX11: v_max3_u32_e64_dpp v5, v1, v2, v3 row_shl:1 row_mask:0xf bank_mask:0xf ; encoding: [0x05,0x00,0x1e,0xd6,0xfa,0x04,0x0e,0x04,0x01,0x01,0x01,0xff]

v_max3_u32_e64_dpp v5, v1, v2, v3 row_shl:15
// GFX11: v_max3_u32_e64_dpp v5, v1, v2, v3 row_shl:15 row_mask:0xf bank_mask:0xf ; encoding: [0x05,0x00,0x1e,0xd6,0xfa,0x04,0x0e,0x04,0x01,0x0f,0x01,0xff]

v_max3_u32_e64_dpp v5, v1, v2, v3 row_shr:1
// GFX11: v_max3_u32_e64_dpp v5, v1, v2, v3 row_shr:1 row_mask:0xf bank_mask:0xf ; encoding: [0x05,0x00,0x1e,0xd6,0xfa,0x04,0x0e,0x04,0x01,0x11,0x01,0xff]

v_max3_u32_e64_dpp v5, v1, v2, v3 row_shr:15
// GFX11: v_max3_u32_e64_dpp v5, v1, v2, v3 row_shr:15 row_mask:0xf bank_mask:0xf ; encoding: [0x05,0x00,0x1e,0xd6,0xfa,0x04,0x0e,0x04,0x01,0x1f,0x01,0xff]

v_max3_u32_e64_dpp v5, v1, v2, v3 row_xmask:0
// GFX11: v_max3_u32_e64_dpp v5, v1, v2, v3 row_xmask:0 row_mask:0xf bank_mask:0xf ; encoding: [0x05,0x00,0x1e,0xd6,0xfa,0x04,0x0e,0x04,0x01,0x60,0x01,0xff]

v_max3_u32_e64_dpp v5, v1, v2, v3 row_xmask:15
// GFX11: v_max3_u32_e64_dpp v5, v1, v2, v3 row_xmask:15 row_mask:0xf bank_mask:0xf ; encoding: [0x05,0x00,0x1e,0xd6,0xfa,0x04,0x0e,0x04,0x01,0x6f,0x01,0xff]

v_max3_u32_e64_dpp v5, v1, v2, v3 quad_perm:[3,2,1,0] fi:0
// GFX11: v_max3_u32_e64_dpp v5, v1, v2, v3 quad_perm:[3,2,1,0] row_mask:0xf bank_mask:0xf ; encoding: [0x05,0x00,0x1e,0xd6,0xfa,0x04,0x0e,0x04,0x01,0x1b,0x00,0xff]

v_max3_u32_e64_dpp v5, v1, v2, v3 quad_perm:[3,2,1,0] fi:1
// GFX11: v_max3_u32_e64_dpp v5, v1, v2, v3 quad_perm:[3,2,1,0] row_mask:0xf bank_mask:0xf fi:1 ; encoding: [0x05,0x00,0x1e,0xd6,0xfa,0x04,0x0e,0x04,0x01,0x1b,0x04,0xff]

v_max3_u32_e64_dpp v5, v1, v2, v3 quad_perm:[3,2,1,0] row_mask:0x0 bank_mask:0x1
// GFX11: v_max3_u32_e64_dpp v5, v1, v2, v3 quad_perm:[3,2,1,0] row_mask:0x0 bank_mask:0x1 ; encoding: [0x05,0x00,0x1e,0xd6,0xfa,0x04,0x0e,0x04,0x01,0x1b,0x00,0x01]

v_max3_u32_e64_dpp v5, v1, v2, v3 quad_perm:[3,2,1,0] row_mask:0x3 bank_mask:0x0
// GFX11: v_max3_u32_e64_dpp v5, v1, v2, v3 quad_perm:[3,2,1,0] row_mask:0x3 bank_mask:0x0 ; encoding: [0x05,0x00,0x1e,0xd6,0xfa,0x04,0x0e,0x04,0x01,0x1b,0x00,0x30]
	;; [unrolled: 3-line block ×3, first 2 shown]

v_max_i16_e64_dpp v5.l, v1.l, v2.l quad_perm:[3,2,1,0]
// GFX11: v_max_i16_e64_dpp v5.l, v1.l, v2.l quad_perm:[3,2,1,0] row_mask:0xf bank_mask:0xf ; encoding: [0x05,0x00,0x0a,0xd7,0xfa,0x04,0x02,0x00,0x01,0x1b,0x00,0xff]

v_max_i16_e64_dpp v255.l, v255.l, v255.l quad_perm:[3,2,1,0]
// GFX11: v_max_i16_e64_dpp v255.l, v255.l, v255.l quad_perm:[3,2,1,0] row_mask:0xf bank_mask:0xf ; encoding: [0xff,0x00,0x0a,0xd7,0xfa,0xfe,0x03,0x00,0xff,0x1b,0x00,0xff]

v_max_i16_e64_dpp v5.l, v1.h, v2.l op_sel:[1,0,0] quad_perm:[3,2,1,0]
// GFX11: v_max_i16_e64_dpp v5.l, v1.h, v2.l op_sel:[1,0,0] quad_perm:[3,2,1,0] row_mask:0xf bank_mask:0xf ; encoding: [0x05,0x08,0x0a,0xd7,0xfa,0x04,0x02,0x00,0x01,0x1b,0x00,0xff]

v_max_i16_e64_dpp v5.l, v1.l, v2.h op_sel:[0,1,0] quad_perm:[3,2,1,0]
// GFX11: v_max_i16_e64_dpp v5.l, v1.l, v2.h op_sel:[0,1,0] quad_perm:[3,2,1,0] row_mask:0xf bank_mask:0xf ; encoding: [0x05,0x10,0x0a,0xd7,0xfa,0x04,0x02,0x00,0x01,0x1b,0x00,0xff]

v_max_i16_e64_dpp v5.l, v1.l, v2.l quad_perm:[3,2,1,0] bound_ctrl:0
// GFX11: v_max_i16_e64_dpp v5.l, v1.l, v2.l quad_perm:[3,2,1,0] row_mask:0xf bank_mask:0xf ; encoding: [0x05,0x00,0x0a,0xd7,0xfa,0x04,0x02,0x00,0x01,0x1b,0x00,0xff]

v_max_i16_e64_dpp v5.l, v1.l, v2.l quad_perm:[3,2,1,0] bound_ctrl:1
// GFX11: v_max_i16_e64_dpp v5.l, v1.l, v2.l quad_perm:[3,2,1,0] row_mask:0xf bank_mask:0xf bound_ctrl:1 ; encoding: [0x05,0x00,0x0a,0xd7,0xfa,0x04,0x02,0x00,0x01,0x1b,0x08,0xff]

v_max_i16_e64_dpp v5.l, v1.l, v2.l quad_perm:[0,1,2,3]
// GFX11: v_max_i16_e64_dpp v5.l, v1.l, v2.l quad_perm:[0,1,2,3] row_mask:0xf bank_mask:0xf ; encoding: [0x05,0x00,0x0a,0xd7,0xfa,0x04,0x02,0x00,0x01,0xe4,0x00,0xff]

v_max_i16_e64_dpp v5.l, v1.l, v2.l row_half_mirror
// GFX11: v_max_i16_e64_dpp v5.l, v1.l, v2.l row_half_mirror row_mask:0xf bank_mask:0xf ; encoding: [0x05,0x00,0x0a,0xd7,0xfa,0x04,0x02,0x00,0x01,0x41,0x01,0xff]

v_max_i16_e64_dpp v5.l, v1.l, v2.l row_mirror
// GFX11: v_max_i16_e64_dpp v5.l, v1.l, v2.l row_mirror row_mask:0xf bank_mask:0xf ; encoding: [0x05,0x00,0x0a,0xd7,0xfa,0x04,0x02,0x00,0x01,0x40,0x01,0xff]

v_max_i16_e64_dpp v5.l, v1.l, v2.l row_ror:1
// GFX11: v_max_i16_e64_dpp v5.l, v1.l, v2.l row_ror:1 row_mask:0xf bank_mask:0xf ; encoding: [0x05,0x00,0x0a,0xd7,0xfa,0x04,0x02,0x00,0x01,0x21,0x01,0xff]

v_max_i16_e64_dpp v5.l, v1.l, v2.l row_ror:15
// GFX11: v_max_i16_e64_dpp v5.l, v1.l, v2.l row_ror:15 row_mask:0xf bank_mask:0xf ; encoding: [0x05,0x00,0x0a,0xd7,0xfa,0x04,0x02,0x00,0x01,0x2f,0x01,0xff]

v_max_i16_e64_dpp v5.l, v1.l, v2.l row_share:0
// GFX11: v_max_i16_e64_dpp v5.l, v1.l, v2.l row_share:0 row_mask:0xf bank_mask:0xf ; encoding: [0x05,0x00,0x0a,0xd7,0xfa,0x04,0x02,0x00,0x01,0x50,0x01,0xff]

v_max_i16_e64_dpp v5.l, v1.l, v2.l row_share:15
// GFX11: v_max_i16_e64_dpp v5.l, v1.l, v2.l row_share:15 row_mask:0xf bank_mask:0xf ; encoding: [0x05,0x00,0x0a,0xd7,0xfa,0x04,0x02,0x00,0x01,0x5f,0x01,0xff]

v_max_i16_e64_dpp v5.l, v1.l, v2.l row_shl:1
// GFX11: v_max_i16_e64_dpp v5.l, v1.l, v2.l row_shl:1 row_mask:0xf bank_mask:0xf ; encoding: [0x05,0x00,0x0a,0xd7,0xfa,0x04,0x02,0x00,0x01,0x01,0x01,0xff]

v_max_i16_e64_dpp v5.l, v1.l, v2.l row_shl:15
// GFX11: v_max_i16_e64_dpp v5.l, v1.l, v2.l row_shl:15 row_mask:0xf bank_mask:0xf ; encoding: [0x05,0x00,0x0a,0xd7,0xfa,0x04,0x02,0x00,0x01,0x0f,0x01,0xff]

v_max_i16_e64_dpp v5.l, v1.l, v2.l row_shr:1
// GFX11: v_max_i16_e64_dpp v5.l, v1.l, v2.l row_shr:1 row_mask:0xf bank_mask:0xf ; encoding: [0x05,0x00,0x0a,0xd7,0xfa,0x04,0x02,0x00,0x01,0x11,0x01,0xff]

v_max_i16_e64_dpp v5.l, v1.l, v2.l row_shr:15
// GFX11: v_max_i16_e64_dpp v5.l, v1.l, v2.l row_shr:15 row_mask:0xf bank_mask:0xf ; encoding: [0x05,0x00,0x0a,0xd7,0xfa,0x04,0x02,0x00,0x01,0x1f,0x01,0xff]

v_max_i16_e64_dpp v5.l, v1.l, v2.l row_xmask:0
// GFX11: v_max_i16_e64_dpp v5.l, v1.l, v2.l row_xmask:0 row_mask:0xf bank_mask:0xf ; encoding: [0x05,0x00,0x0a,0xd7,0xfa,0x04,0x02,0x00,0x01,0x60,0x01,0xff]

v_max_i16_e64_dpp v5.l, v1.l, v2.l row_xmask:15
// GFX11: v_max_i16_e64_dpp v5.l, v1.l, v2.l row_xmask:15 row_mask:0xf bank_mask:0xf ; encoding: [0x05,0x00,0x0a,0xd7,0xfa,0x04,0x02,0x00,0x01,0x6f,0x01,0xff]

v_max_i16_e64_dpp v5.l, v1.l, v2.l quad_perm:[3,2,1,0] fi:0
// GFX11: v_max_i16_e64_dpp v5.l, v1.l, v2.l quad_perm:[3,2,1,0] row_mask:0xf bank_mask:0xf ; encoding: [0x05,0x00,0x0a,0xd7,0xfa,0x04,0x02,0x00,0x01,0x1b,0x00,0xff]

v_max_i16_e64_dpp v5.l, v1.l, v2.l quad_perm:[3,2,1,0] fi:1
// GFX11: v_max_i16_e64_dpp v5.l, v1.l, v2.l quad_perm:[3,2,1,0] row_mask:0xf bank_mask:0xf fi:1 ; encoding: [0x05,0x00,0x0a,0xd7,0xfa,0x04,0x02,0x00,0x01,0x1b,0x04,0xff]

v_max_i16_e64_dpp v5.l, v1.l, v2.l quad_perm:[3,2,1,0] row_mask:0x0 bank_mask:0x1
// GFX11: v_max_i16_e64_dpp v5.l, v1.l, v2.l quad_perm:[3,2,1,0] row_mask:0x0 bank_mask:0x1 ; encoding: [0x05,0x00,0x0a,0xd7,0xfa,0x04,0x02,0x00,0x01,0x1b,0x00,0x01]

v_max_i16_e64_dpp v5.l, v1.l, v2.l quad_perm:[3,2,1,0] row_mask:0x3 bank_mask:0x0
// GFX11: v_max_i16_e64_dpp v5.l, v1.l, v2.l quad_perm:[3,2,1,0] row_mask:0x3 bank_mask:0x0 ; encoding: [0x05,0x00,0x0a,0xd7,0xfa,0x04,0x02,0x00,0x01,0x1b,0x00,0x30]
	;; [unrolled: 3-line block ×3, first 2 shown]

v_max_u16_e64_dpp v5.l, v1.l, v2.l quad_perm:[3,2,1,0]
// GFX11: v_max_u16_e64_dpp v5.l, v1.l, v2.l quad_perm:[3,2,1,0] row_mask:0xf bank_mask:0xf ; encoding: [0x05,0x00,0x09,0xd7,0xfa,0x04,0x02,0x00,0x01,0x1b,0x00,0xff]

v_max_u16_e64_dpp v255.l, v255.l, v255.l quad_perm:[3,2,1,0]
// GFX11: v_max_u16_e64_dpp v255.l, v255.l, v255.l quad_perm:[3,2,1,0] row_mask:0xf bank_mask:0xf ; encoding: [0xff,0x00,0x09,0xd7,0xfa,0xfe,0x03,0x00,0xff,0x1b,0x00,0xff]

v_max_u16_e64_dpp v5.l, v1.h, v2.l op_sel:[1,0,0] quad_perm:[3,2,1,0]
// GFX11: v_max_u16_e64_dpp v5.l, v1.h, v2.l op_sel:[1,0,0] quad_perm:[3,2,1,0] row_mask:0xf bank_mask:0xf ; encoding: [0x05,0x08,0x09,0xd7,0xfa,0x04,0x02,0x00,0x01,0x1b,0x00,0xff]

v_max_u16_e64_dpp v5.l, v1.l, v2.h op_sel:[0,1,0] quad_perm:[3,2,1,0]
// GFX11: v_max_u16_e64_dpp v5.l, v1.l, v2.h op_sel:[0,1,0] quad_perm:[3,2,1,0] row_mask:0xf bank_mask:0xf ; encoding: [0x05,0x10,0x09,0xd7,0xfa,0x04,0x02,0x00,0x01,0x1b,0x00,0xff]

v_max_u16_e64_dpp v5.l, v1.l, v2.l quad_perm:[3,2,1,0] bound_ctrl:0
// GFX11: v_max_u16_e64_dpp v5.l, v1.l, v2.l quad_perm:[3,2,1,0] row_mask:0xf bank_mask:0xf ; encoding: [0x05,0x00,0x09,0xd7,0xfa,0x04,0x02,0x00,0x01,0x1b,0x00,0xff]

v_max_u16_e64_dpp v5.l, v1.l, v2.l quad_perm:[3,2,1,0] bound_ctrl:1
// GFX11: v_max_u16_e64_dpp v5.l, v1.l, v2.l quad_perm:[3,2,1,0] row_mask:0xf bank_mask:0xf bound_ctrl:1 ; encoding: [0x05,0x00,0x09,0xd7,0xfa,0x04,0x02,0x00,0x01,0x1b,0x08,0xff]

v_max_u16_e64_dpp v5.l, v1.l, v2.l quad_perm:[0,1,2,3]
// GFX11: v_max_u16_e64_dpp v5.l, v1.l, v2.l quad_perm:[0,1,2,3] row_mask:0xf bank_mask:0xf ; encoding: [0x05,0x00,0x09,0xd7,0xfa,0x04,0x02,0x00,0x01,0xe4,0x00,0xff]

v_max_u16_e64_dpp v5.l, v1.l, v2.l row_half_mirror
// GFX11: v_max_u16_e64_dpp v5.l, v1.l, v2.l row_half_mirror row_mask:0xf bank_mask:0xf ; encoding: [0x05,0x00,0x09,0xd7,0xfa,0x04,0x02,0x00,0x01,0x41,0x01,0xff]

v_max_u16_e64_dpp v5.l, v1.l, v2.l row_mirror
// GFX11: v_max_u16_e64_dpp v5.l, v1.l, v2.l row_mirror row_mask:0xf bank_mask:0xf ; encoding: [0x05,0x00,0x09,0xd7,0xfa,0x04,0x02,0x00,0x01,0x40,0x01,0xff]

v_max_u16_e64_dpp v5.l, v1.l, v2.l row_ror:1
// GFX11: v_max_u16_e64_dpp v5.l, v1.l, v2.l row_ror:1 row_mask:0xf bank_mask:0xf ; encoding: [0x05,0x00,0x09,0xd7,0xfa,0x04,0x02,0x00,0x01,0x21,0x01,0xff]

v_max_u16_e64_dpp v5.l, v1.l, v2.l row_ror:15
// GFX11: v_max_u16_e64_dpp v5.l, v1.l, v2.l row_ror:15 row_mask:0xf bank_mask:0xf ; encoding: [0x05,0x00,0x09,0xd7,0xfa,0x04,0x02,0x00,0x01,0x2f,0x01,0xff]

v_max_u16_e64_dpp v5.l, v1.l, v2.l row_share:0
// GFX11: v_max_u16_e64_dpp v5.l, v1.l, v2.l row_share:0 row_mask:0xf bank_mask:0xf ; encoding: [0x05,0x00,0x09,0xd7,0xfa,0x04,0x02,0x00,0x01,0x50,0x01,0xff]

v_max_u16_e64_dpp v5.l, v1.l, v2.l row_share:15
// GFX11: v_max_u16_e64_dpp v5.l, v1.l, v2.l row_share:15 row_mask:0xf bank_mask:0xf ; encoding: [0x05,0x00,0x09,0xd7,0xfa,0x04,0x02,0x00,0x01,0x5f,0x01,0xff]

v_max_u16_e64_dpp v5.l, v1.l, v2.l row_shl:1
// GFX11: v_max_u16_e64_dpp v5.l, v1.l, v2.l row_shl:1 row_mask:0xf bank_mask:0xf ; encoding: [0x05,0x00,0x09,0xd7,0xfa,0x04,0x02,0x00,0x01,0x01,0x01,0xff]

v_max_u16_e64_dpp v5.l, v1.l, v2.l row_shl:15
// GFX11: v_max_u16_e64_dpp v5.l, v1.l, v2.l row_shl:15 row_mask:0xf bank_mask:0xf ; encoding: [0x05,0x00,0x09,0xd7,0xfa,0x04,0x02,0x00,0x01,0x0f,0x01,0xff]

v_max_u16_e64_dpp v5.l, v1.l, v2.l row_shr:1
// GFX11: v_max_u16_e64_dpp v5.l, v1.l, v2.l row_shr:1 row_mask:0xf bank_mask:0xf ; encoding: [0x05,0x00,0x09,0xd7,0xfa,0x04,0x02,0x00,0x01,0x11,0x01,0xff]

v_max_u16_e64_dpp v5.l, v1.l, v2.l row_shr:15
// GFX11: v_max_u16_e64_dpp v5.l, v1.l, v2.l row_shr:15 row_mask:0xf bank_mask:0xf ; encoding: [0x05,0x00,0x09,0xd7,0xfa,0x04,0x02,0x00,0x01,0x1f,0x01,0xff]

v_max_u16_e64_dpp v5.l, v1.l, v2.l row_xmask:0
// GFX11: v_max_u16_e64_dpp v5.l, v1.l, v2.l row_xmask:0 row_mask:0xf bank_mask:0xf ; encoding: [0x05,0x00,0x09,0xd7,0xfa,0x04,0x02,0x00,0x01,0x60,0x01,0xff]

v_max_u16_e64_dpp v5.l, v1.l, v2.l row_xmask:15
// GFX11: v_max_u16_e64_dpp v5.l, v1.l, v2.l row_xmask:15 row_mask:0xf bank_mask:0xf ; encoding: [0x05,0x00,0x09,0xd7,0xfa,0x04,0x02,0x00,0x01,0x6f,0x01,0xff]

v_max_u16_e64_dpp v5.l, v1.l, v2.l quad_perm:[3,2,1,0] fi:0
// GFX11: v_max_u16_e64_dpp v5.l, v1.l, v2.l quad_perm:[3,2,1,0] row_mask:0xf bank_mask:0xf ; encoding: [0x05,0x00,0x09,0xd7,0xfa,0x04,0x02,0x00,0x01,0x1b,0x00,0xff]

v_max_u16_e64_dpp v5.l, v1.l, v2.l quad_perm:[3,2,1,0] fi:1
// GFX11: v_max_u16_e64_dpp v5.l, v1.l, v2.l quad_perm:[3,2,1,0] row_mask:0xf bank_mask:0xf fi:1 ; encoding: [0x05,0x00,0x09,0xd7,0xfa,0x04,0x02,0x00,0x01,0x1b,0x04,0xff]

v_max_u16_e64_dpp v5.l, v1.l, v2.l quad_perm:[3,2,1,0] row_mask:0x0 bank_mask:0x1
// GFX11: v_max_u16_e64_dpp v5.l, v1.l, v2.l quad_perm:[3,2,1,0] row_mask:0x0 bank_mask:0x1 ; encoding: [0x05,0x00,0x09,0xd7,0xfa,0x04,0x02,0x00,0x01,0x1b,0x00,0x01]

v_max_u16_e64_dpp v5.l, v1.l, v2.l quad_perm:[3,2,1,0] row_mask:0x3 bank_mask:0x0
// GFX11: v_max_u16_e64_dpp v5.l, v1.l, v2.l quad_perm:[3,2,1,0] row_mask:0x3 bank_mask:0x0 ; encoding: [0x05,0x00,0x09,0xd7,0xfa,0x04,0x02,0x00,0x01,0x1b,0x00,0x30]
	;; [unrolled: 3-line block ×3, first 2 shown]

v_maxmin_f16_e64_dpp v5.l, v1.l, v2.l, v3.l quad_perm:[3,2,1,0]
// GFX11: v_maxmin_f16_e64_dpp v5.l, v1.l, v2.l, v3.l quad_perm:[3,2,1,0] row_mask:0xf bank_mask:0xf ; encoding: [0x05,0x00,0x60,0xd6,0xfa,0x04,0x0e,0x04,0x01,0x1b,0x00,0xff]

v_maxmin_f16_e64_dpp v255.l, v255.l, v255.l, v255.l quad_perm:[3,2,1,0]
// GFX11: v_maxmin_f16_e64_dpp v255.l, v255.l, v255.l, v255.l quad_perm:[3,2,1,0] row_mask:0xf bank_mask:0xf ; encoding: [0xff,0x00,0x60,0xd6,0xfa,0xfe,0xff,0x07,0xff,0x1b,0x00,0xff]

v_maxmin_f16_e64_dpp v5.l, -v7.l, v2.l, v3.l quad_perm:[3,2,1,0]
// GFX11: v_maxmin_f16_e64_dpp v5.l, -v7.l, v2.l, v3.l quad_perm:[3,2,1,0] row_mask:0xf bank_mask:0xf ; encoding: [0x05,0x00,0x60,0xd6,0xfa,0x04,0x0e,0x24,0x07,0x1b,0x00,0xff]

v_maxmin_f16_e64_dpp v5.l, |v7.l|, v2.l, v3.l quad_perm:[3,2,1,0]
// GFX11: v_maxmin_f16_e64_dpp v5.l, |v7.l|, v2.l, v3.l quad_perm:[3,2,1,0] row_mask:0xf bank_mask:0xf ; encoding: [0x05,0x01,0x60,0xd6,0xfa,0x04,0x0e,0x04,0x07,0x1b,0x00,0xff]

v_maxmin_f16_e64_dpp v5.l, -|v7.l|, v2.l, v3.l quad_perm:[3,2,1,0]
// GFX11: v_maxmin_f16_e64_dpp v5.l, -|v7.l|, v2.l, v3.l quad_perm:[3,2,1,0] row_mask:0xf bank_mask:0xf ; encoding: [0x05,0x01,0x60,0xd6,0xfa,0x04,0x0e,0x24,0x07,0x1b,0x00,0xff]

v_maxmin_f16_e64_dpp v5.l, v1.l, -v7.l, v3.l quad_perm:[3,2,1,0]
// GFX11: v_maxmin_f16_e64_dpp v5.l, v1.l, -v7.l, v3.l quad_perm:[3,2,1,0] row_mask:0xf bank_mask:0xf ; encoding: [0x05,0x00,0x60,0xd6,0xfa,0x0e,0x0e,0x44,0x01,0x1b,0x00,0xff]

v_maxmin_f16_e64_dpp v5.l, v1.l, |v7.l|, v3.l quad_perm:[3,2,1,0]
// GFX11: v_maxmin_f16_e64_dpp v5.l, v1.l, |v7.l|, v3.l quad_perm:[3,2,1,0] row_mask:0xf bank_mask:0xf ; encoding: [0x05,0x02,0x60,0xd6,0xfa,0x0e,0x0e,0x04,0x01,0x1b,0x00,0xff]

v_maxmin_f16_e64_dpp v5.l, v1.l, -|v7.l|, v3.l quad_perm:[3,2,1,0]
// GFX11: v_maxmin_f16_e64_dpp v5.l, v1.l, -|v7.l|, v3.l quad_perm:[3,2,1,0] row_mask:0xf bank_mask:0xf ; encoding: [0x05,0x02,0x60,0xd6,0xfa,0x0e,0x0e,0x44,0x01,0x1b,0x00,0xff]

v_maxmin_f16_e64_dpp v5.l, v1.l, v2.l, -1 quad_perm:[3,2,1,0]
// GFX11: v_maxmin_f16_e64_dpp v5.l, v1.l, v2.l, -1 quad_perm:[3,2,1,0] row_mask:0xf bank_mask:0xf ; encoding: [0x05,0x00,0x60,0xd6,0xfa,0x04,0x06,0x03,0x01,0x1b,0x00,0xff]

v_maxmin_f16_e64_dpp v5.l, v1.l, v2.l, 0.5 quad_perm:[3,2,1,0]
// GFX11: v_maxmin_f16_e64_dpp v5.l, v1.l, v2.l, 0.5 quad_perm:[3,2,1,0] row_mask:0xf bank_mask:0xf ; encoding: [0x05,0x00,0x60,0xd6,0xfa,0x04,0xc2,0x03,0x01,0x1b,0x00,0xff]

v_maxmin_f16_e64_dpp v5.l, v1.l, v2.l, exec_hi quad_perm:[3,2,1,0]
// GFX11: v_maxmin_f16_e64_dpp v5.l, v1.l, v2.l, exec_hi quad_perm:[3,2,1,0] row_mask:0xf bank_mask:0xf ; encoding: [0x05,0x00,0x60,0xd6,0xfa,0x04,0xfe,0x01,0x01,0x1b,0x00,0xff]

v_maxmin_f16_e64_dpp v5.l, v1.l, v2.l, exec_lo quad_perm:[3,2,1,0]
// GFX11: v_maxmin_f16_e64_dpp v5.l, v1.l, v2.l, exec_lo quad_perm:[3,2,1,0] row_mask:0xf bank_mask:0xf ; encoding: [0x05,0x00,0x60,0xd6,0xfa,0x04,0xfa,0x01,0x01,0x1b,0x00,0xff]

v_maxmin_f16_e64_dpp v5.l, v1.l, v2.l, m0 quad_perm:[3,2,1,0]
// GFX11: v_maxmin_f16_e64_dpp v5.l, v1.l, v2.l, m0 quad_perm:[3,2,1,0] row_mask:0xf bank_mask:0xf ; encoding: [0x05,0x00,0x60,0xd6,0xfa,0x04,0xf6,0x01,0x01,0x1b,0x00,0xff]

v_maxmin_f16_e64_dpp v5.l, v1.l, v2.l, null quad_perm:[3,2,1,0]
// GFX11: v_maxmin_f16_e64_dpp v5.l, v1.l, v2.l, null quad_perm:[3,2,1,0] row_mask:0xf bank_mask:0xf ; encoding: [0x05,0x00,0x60,0xd6,0xfa,0x04,0xf2,0x01,0x01,0x1b,0x00,0xff]

v_maxmin_f16_e64_dpp v5.l, v1.l, v2.l, s105 quad_perm:[3,2,1,0]
// GFX11: v_maxmin_f16_e64_dpp v5.l, v1.l, v2.l, s105 quad_perm:[3,2,1,0] row_mask:0xf bank_mask:0xf ; encoding: [0x05,0x00,0x60,0xd6,0xfa,0x04,0xa6,0x01,0x01,0x1b,0x00,0xff]

v_maxmin_f16_e64_dpp v5.l, v1.l, v2.l, s3 quad_perm:[3,2,1,0]
// GFX11: v_maxmin_f16_e64_dpp v5.l, v1.l, v2.l, s3 quad_perm:[3,2,1,0] row_mask:0xf bank_mask:0xf ; encoding: [0x05,0x00,0x60,0xd6,0xfa,0x04,0x0e,0x00,0x01,0x1b,0x00,0xff]

v_maxmin_f16_e64_dpp v5.l, v1.l, v2.l, src_scc quad_perm:[3,2,1,0]
// GFX11: v_maxmin_f16_e64_dpp v5.l, v1.l, v2.l, src_scc quad_perm:[3,2,1,0] row_mask:0xf bank_mask:0xf ; encoding: [0x05,0x00,0x60,0xd6,0xfa,0x04,0xf6,0x03,0x01,0x1b,0x00,0xff]

v_maxmin_f16_e64_dpp v5.l, v1.l, v2.l, ttmp15 quad_perm:[3,2,1,0]
// GFX11: v_maxmin_f16_e64_dpp v5.l, v1.l, v2.l, ttmp15 quad_perm:[3,2,1,0] row_mask:0xf bank_mask:0xf ; encoding: [0x05,0x00,0x60,0xd6,0xfa,0x04,0xee,0x01,0x01,0x1b,0x00,0xff]

v_maxmin_f16_e64_dpp v5.l, v1.l, v2.l, v255.h quad_perm:[3,2,1,0]
// GFX11: v_maxmin_f16_e64_dpp v5.l, v1.l, v2.l, v255.h op_sel:[0,0,1,0] quad_perm:[3,2,1,0] row_mask:0xf bank_mask:0xf ; encoding: [0x05,0x20,0x60,0xd6,0xfa,0x04,0xfe,0x07,0x01,0x1b,0x00,0xff]

v_maxmin_f16_e64_dpp v5.l, v1.l, v2.l, v255.l quad_perm:[3,2,1,0]
// GFX11: v_maxmin_f16_e64_dpp v5.l, v1.l, v2.l, v255.l quad_perm:[3,2,1,0] row_mask:0xf bank_mask:0xf ; encoding: [0x05,0x00,0x60,0xd6,0xfa,0x04,0xfe,0x07,0x01,0x1b,0x00,0xff]

v_maxmin_f16_e64_dpp v5.l, v1.l, v2.l, v3.h quad_perm:[3,2,1,0]
// GFX11: v_maxmin_f16_e64_dpp v5.l, v1.l, v2.l, v3.h op_sel:[0,0,1,0] quad_perm:[3,2,1,0] row_mask:0xf bank_mask:0xf ; encoding: [0x05,0x20,0x60,0xd6,0xfa,0x04,0x0e,0x04,0x01,0x1b,0x00,0xff]

v_maxmin_f16_e64_dpp v5.l, v1.l, v2.l, vcc_hi quad_perm:[3,2,1,0]
// GFX11: v_maxmin_f16_e64_dpp v5.l, v1.l, v2.l, vcc_hi quad_perm:[3,2,1,0] row_mask:0xf bank_mask:0xf ; encoding: [0x05,0x00,0x60,0xd6,0xfa,0x04,0xae,0x01,0x01,0x1b,0x00,0xff]

v_maxmin_f16_e64_dpp v5.l, v1.l, v2.l, vcc_lo quad_perm:[3,2,1,0]
// GFX11: v_maxmin_f16_e64_dpp v5.l, v1.l, v2.l, vcc_lo quad_perm:[3,2,1,0] row_mask:0xf bank_mask:0xf ; encoding: [0x05,0x00,0x60,0xd6,0xfa,0x04,0xaa,0x01,0x01,0x1b,0x00,0xff]

v_maxmin_f16_e64_dpp v5.l, v1.l, v2.l, -|0.5| quad_perm:[3,2,1,0]
// GFX11: v_maxmin_f16_e64_dpp v5.l, v1.l, v2.l, -|0.5| quad_perm:[3,2,1,0] row_mask:0xf bank_mask:0xf ; encoding: [0x05,0x04,0x60,0xd6,0xfa,0x04,0xc2,0x83,0x01,0x1b,0x00,0xff]

v_maxmin_f16_e64_dpp v5.l, v1.h, v2.l, v3.l op_sel:[1,0,0,0] quad_perm:[3,2,1,0]
// GFX11: v_maxmin_f16_e64_dpp v5.l, v1.h, v2.l, v3.l op_sel:[1,0,0,0] quad_perm:[3,2,1,0] row_mask:0xf bank_mask:0xf ; encoding: [0x05,0x08,0x60,0xd6,0xfa,0x04,0x0e,0x04,0x01,0x1b,0x00,0xff]

v_maxmin_f16_e64_dpp v5.l, v1.l, v2.h, v3.l op_sel:[0,1,0,0] quad_perm:[3,2,1,0]
// GFX11: v_maxmin_f16_e64_dpp v5.l, v1.l, v2.h, v3.l op_sel:[0,1,0,0] quad_perm:[3,2,1,0] row_mask:0xf bank_mask:0xf ; encoding: [0x05,0x10,0x60,0xd6,0xfa,0x04,0x0e,0x04,0x01,0x1b,0x00,0xff]

v_maxmin_f16_e64_dpp v5.l, v1.l, v2.l, v3.h op_sel:[0,0,1,0] quad_perm:[3,2,1,0]
// GFX11: v_maxmin_f16_e64_dpp v5.l, v1.l, v2.l, v3.h op_sel:[0,0,1,0] quad_perm:[3,2,1,0] row_mask:0xf bank_mask:0xf ; encoding: [0x05,0x20,0x60,0xd6,0xfa,0x04,0x0e,0x04,0x01,0x1b,0x00,0xff]

v_maxmin_f16_e64_dpp v5.l, v1.l, v2.l, v3.l quad_perm:[3,2,1,0] bound_ctrl:0
// GFX11: v_maxmin_f16_e64_dpp v5.l, v1.l, v2.l, v3.l quad_perm:[3,2,1,0] row_mask:0xf bank_mask:0xf ; encoding: [0x05,0x00,0x60,0xd6,0xfa,0x04,0x0e,0x04,0x01,0x1b,0x00,0xff]

v_maxmin_f16_e64_dpp v5.l, v1.l, v2.l, v3.l quad_perm:[3,2,1,0] bound_ctrl:1
// GFX11: v_maxmin_f16_e64_dpp v5.l, v1.l, v2.l, v3.l quad_perm:[3,2,1,0] row_mask:0xf bank_mask:0xf bound_ctrl:1 ; encoding: [0x05,0x00,0x60,0xd6,0xfa,0x04,0x0e,0x04,0x01,0x1b,0x08,0xff]

v_maxmin_f16_e64_dpp v5.l, v1.l, v2.l, v3.l quad_perm:[0,1,2,3]
// GFX11: v_maxmin_f16_e64_dpp v5.l, v1.l, v2.l, v3.l quad_perm:[0,1,2,3] row_mask:0xf bank_mask:0xf ; encoding: [0x05,0x00,0x60,0xd6,0xfa,0x04,0x0e,0x04,0x01,0xe4,0x00,0xff]

v_maxmin_f16_e64_dpp v5.l, v1.l, v2.l, v3.l row_half_mirror
// GFX11: v_maxmin_f16_e64_dpp v5.l, v1.l, v2.l, v3.l row_half_mirror row_mask:0xf bank_mask:0xf ; encoding: [0x05,0x00,0x60,0xd6,0xfa,0x04,0x0e,0x04,0x01,0x41,0x01,0xff]

v_maxmin_f16_e64_dpp v5.l, v1.l, v2.l, v3.l row_mirror
// GFX11: v_maxmin_f16_e64_dpp v5.l, v1.l, v2.l, v3.l row_mirror row_mask:0xf bank_mask:0xf ; encoding: [0x05,0x00,0x60,0xd6,0xfa,0x04,0x0e,0x04,0x01,0x40,0x01,0xff]

v_maxmin_f16_e64_dpp v5.l, v1.l, v2.l, v3.l row_ror:1
// GFX11: v_maxmin_f16_e64_dpp v5.l, v1.l, v2.l, v3.l row_ror:1 row_mask:0xf bank_mask:0xf ; encoding: [0x05,0x00,0x60,0xd6,0xfa,0x04,0x0e,0x04,0x01,0x21,0x01,0xff]

v_maxmin_f16_e64_dpp v5.l, v1.l, v2.l, v3.l row_ror:15
// GFX11: v_maxmin_f16_e64_dpp v5.l, v1.l, v2.l, v3.l row_ror:15 row_mask:0xf bank_mask:0xf ; encoding: [0x05,0x00,0x60,0xd6,0xfa,0x04,0x0e,0x04,0x01,0x2f,0x01,0xff]

v_maxmin_f16_e64_dpp v5.l, v1.l, v2.l, v3.l row_share:0
// GFX11: v_maxmin_f16_e64_dpp v5.l, v1.l, v2.l, v3.l row_share:0 row_mask:0xf bank_mask:0xf ; encoding: [0x05,0x00,0x60,0xd6,0xfa,0x04,0x0e,0x04,0x01,0x50,0x01,0xff]

v_maxmin_f16_e64_dpp v5.l, v1.l, v2.l, v3.l row_share:15
// GFX11: v_maxmin_f16_e64_dpp v5.l, v1.l, v2.l, v3.l row_share:15 row_mask:0xf bank_mask:0xf ; encoding: [0x05,0x00,0x60,0xd6,0xfa,0x04,0x0e,0x04,0x01,0x5f,0x01,0xff]

v_maxmin_f16_e64_dpp v5.l, v1.l, v2.l, v3.l row_shl:1
// GFX11: v_maxmin_f16_e64_dpp v5.l, v1.l, v2.l, v3.l row_shl:1 row_mask:0xf bank_mask:0xf ; encoding: [0x05,0x00,0x60,0xd6,0xfa,0x04,0x0e,0x04,0x01,0x01,0x01,0xff]

v_maxmin_f16_e64_dpp v5.l, v1.l, v2.l, v3.l row_shl:15
// GFX11: v_maxmin_f16_e64_dpp v5.l, v1.l, v2.l, v3.l row_shl:15 row_mask:0xf bank_mask:0xf ; encoding: [0x05,0x00,0x60,0xd6,0xfa,0x04,0x0e,0x04,0x01,0x0f,0x01,0xff]

v_maxmin_f16_e64_dpp v5.l, v1.l, v2.l, v3.l row_shr:1
// GFX11: v_maxmin_f16_e64_dpp v5.l, v1.l, v2.l, v3.l row_shr:1 row_mask:0xf bank_mask:0xf ; encoding: [0x05,0x00,0x60,0xd6,0xfa,0x04,0x0e,0x04,0x01,0x11,0x01,0xff]

v_maxmin_f16_e64_dpp v5.l, v1.l, v2.l, v3.l row_shr:15
// GFX11: v_maxmin_f16_e64_dpp v5.l, v1.l, v2.l, v3.l row_shr:15 row_mask:0xf bank_mask:0xf ; encoding: [0x05,0x00,0x60,0xd6,0xfa,0x04,0x0e,0x04,0x01,0x1f,0x01,0xff]

v_maxmin_f16_e64_dpp v5.l, v1.l, v2.l, v3.l row_xmask:0
// GFX11: v_maxmin_f16_e64_dpp v5.l, v1.l, v2.l, v3.l row_xmask:0 row_mask:0xf bank_mask:0xf ; encoding: [0x05,0x00,0x60,0xd6,0xfa,0x04,0x0e,0x04,0x01,0x60,0x01,0xff]

v_maxmin_f16_e64_dpp v5.l, v1.l, v2.l, v3.l row_xmask:15
// GFX11: v_maxmin_f16_e64_dpp v5.l, v1.l, v2.l, v3.l row_xmask:15 row_mask:0xf bank_mask:0xf ; encoding: [0x05,0x00,0x60,0xd6,0xfa,0x04,0x0e,0x04,0x01,0x6f,0x01,0xff]

v_maxmin_f16_e64_dpp v5.l, v1.l, v2.l, v3.l quad_perm:[3,2,1,0] fi:0
// GFX11: v_maxmin_f16_e64_dpp v5.l, v1.l, v2.l, v3.l quad_perm:[3,2,1,0] row_mask:0xf bank_mask:0xf ; encoding: [0x05,0x00,0x60,0xd6,0xfa,0x04,0x0e,0x04,0x01,0x1b,0x00,0xff]

v_maxmin_f16_e64_dpp v5.l, v1.l, v2.l, v3.l quad_perm:[3,2,1,0] fi:1
// GFX11: v_maxmin_f16_e64_dpp v5.l, v1.l, v2.l, v3.l quad_perm:[3,2,1,0] row_mask:0xf bank_mask:0xf fi:1 ; encoding: [0x05,0x00,0x60,0xd6,0xfa,0x04,0x0e,0x04,0x01,0x1b,0x04,0xff]

v_maxmin_f16_e64_dpp v5.l, v1.l, v2.l, v3.l div:2 quad_perm:[3,2,1,0]
// GFX11: v_maxmin_f16_e64_dpp v5.l, v1.l, v2.l, v3.l div:2 quad_perm:[3,2,1,0] row_mask:0xf bank_mask:0xf ; encoding: [0x05,0x00,0x60,0xd6,0xfa,0x04,0x0e,0x1c,0x01,0x1b,0x00,0xff]

v_maxmin_f16_e64_dpp v5.l, v1.l, v2.l, v3.l mul:2 quad_perm:[3,2,1,0]
// GFX11: v_maxmin_f16_e64_dpp v5.l, v1.l, v2.l, v3.l mul:2 quad_perm:[3,2,1,0] row_mask:0xf bank_mask:0xf ; encoding: [0x05,0x00,0x60,0xd6,0xfa,0x04,0x0e,0x0c,0x01,0x1b,0x00,0xff]

v_maxmin_f16_e64_dpp v5.l, v1.l, v2.l, v3.l mul:4 quad_perm:[3,2,1,0]
// GFX11: v_maxmin_f16_e64_dpp v5.l, v1.l, v2.l, v3.l mul:4 quad_perm:[3,2,1,0] row_mask:0xf bank_mask:0xf ; encoding: [0x05,0x00,0x60,0xd6,0xfa,0x04,0x0e,0x14,0x01,0x1b,0x00,0xff]

v_maxmin_f16_e64_dpp v5.l, v1.l, v2.l, v3.l quad_perm:[3,2,1,0] row_mask:0x0 bank_mask:0x1
// GFX11: v_maxmin_f16_e64_dpp v5.l, v1.l, v2.l, v3.l quad_perm:[3,2,1,0] row_mask:0x0 bank_mask:0x1 ; encoding: [0x05,0x00,0x60,0xd6,0xfa,0x04,0x0e,0x04,0x01,0x1b,0x00,0x01]

v_maxmin_f16_e64_dpp v5.l, v1.l, v2.l, v3.l quad_perm:[3,2,1,0] row_mask:0x3 bank_mask:0x0
// GFX11: v_maxmin_f16_e64_dpp v5.l, v1.l, v2.l, v3.l quad_perm:[3,2,1,0] row_mask:0x3 bank_mask:0x0 ; encoding: [0x05,0x00,0x60,0xd6,0xfa,0x04,0x0e,0x04,0x01,0x1b,0x00,0x30]
	;; [unrolled: 3-line block ×3, first 2 shown]

v_maxmin_f16_e64_dpp v5.l, v1.l, v2.l, v3.l clamp quad_perm:[3,2,1,0]
// GFX11: v_maxmin_f16_e64_dpp v5.l, v1.l, v2.l, v3.l clamp quad_perm:[3,2,1,0] row_mask:0xf bank_mask:0xf ; encoding: [0x05,0x80,0x60,0xd6,0xfa,0x04,0x0e,0x04,0x01,0x1b,0x00,0xff]

v_maxmin_f32_e64_dpp v5, v1, v2, v3 quad_perm:[3,2,1,0]
// GFX11: v_maxmin_f32_e64_dpp v5, v1, v2, v3 quad_perm:[3,2,1,0] row_mask:0xf bank_mask:0xf ; encoding: [0x05,0x00,0x5e,0xd6,0xfa,0x04,0x0e,0x04,0x01,0x1b,0x00,0xff]

v_maxmin_f32_e64_dpp v255, v255, v255, v255 quad_perm:[3,2,1,0]
// GFX11: v_maxmin_f32_e64_dpp v255, v255, v255, v255 quad_perm:[3,2,1,0] row_mask:0xf bank_mask:0xf ; encoding: [0xff,0x00,0x5e,0xd6,0xfa,0xfe,0xff,0x07,0xff,0x1b,0x00,0xff]

v_maxmin_f32_e64_dpp v5, -v7, v2, v3 quad_perm:[3,2,1,0]
// GFX11: v_maxmin_f32_e64_dpp v5, -v7, v2, v3 quad_perm:[3,2,1,0] row_mask:0xf bank_mask:0xf ; encoding: [0x05,0x00,0x5e,0xd6,0xfa,0x04,0x0e,0x24,0x07,0x1b,0x00,0xff]

v_maxmin_f32_e64_dpp v5, |v7|, v2, v3 quad_perm:[3,2,1,0]
// GFX11: v_maxmin_f32_e64_dpp v5, |v7|, v2, v3 quad_perm:[3,2,1,0] row_mask:0xf bank_mask:0xf ; encoding: [0x05,0x01,0x5e,0xd6,0xfa,0x04,0x0e,0x04,0x07,0x1b,0x00,0xff]

v_maxmin_f32_e64_dpp v5, -|v7|, v2, v3 quad_perm:[3,2,1,0]
// GFX11: v_maxmin_f32_e64_dpp v5, -|v7|, v2, v3 quad_perm:[3,2,1,0] row_mask:0xf bank_mask:0xf ; encoding: [0x05,0x01,0x5e,0xd6,0xfa,0x04,0x0e,0x24,0x07,0x1b,0x00,0xff]

v_maxmin_f32_e64_dpp v5, v1, -v7, v3 quad_perm:[3,2,1,0]
// GFX11: v_maxmin_f32_e64_dpp v5, v1, -v7, v3 quad_perm:[3,2,1,0] row_mask:0xf bank_mask:0xf ; encoding: [0x05,0x00,0x5e,0xd6,0xfa,0x0e,0x0e,0x44,0x01,0x1b,0x00,0xff]

v_maxmin_f32_e64_dpp v5, v1, |v7|, v3 quad_perm:[3,2,1,0]
// GFX11: v_maxmin_f32_e64_dpp v5, v1, |v7|, v3 quad_perm:[3,2,1,0] row_mask:0xf bank_mask:0xf ; encoding: [0x05,0x02,0x5e,0xd6,0xfa,0x0e,0x0e,0x04,0x01,0x1b,0x00,0xff]

v_maxmin_f32_e64_dpp v5, v1, -|v7|, v3 quad_perm:[3,2,1,0]
// GFX11: v_maxmin_f32_e64_dpp v5, v1, -|v7|, v3 quad_perm:[3,2,1,0] row_mask:0xf bank_mask:0xf ; encoding: [0x05,0x02,0x5e,0xd6,0xfa,0x0e,0x0e,0x44,0x01,0x1b,0x00,0xff]

v_maxmin_f32_e64_dpp v5, v1, v2, -1 quad_perm:[3,2,1,0]
// GFX11: v_maxmin_f32_e64_dpp v5, v1, v2, -1 quad_perm:[3,2,1,0] row_mask:0xf bank_mask:0xf ; encoding: [0x05,0x00,0x5e,0xd6,0xfa,0x04,0x06,0x03,0x01,0x1b,0x00,0xff]

v_maxmin_f32_e64_dpp v5, v1, v2, 0.5 quad_perm:[3,2,1,0]
// GFX11: v_maxmin_f32_e64_dpp v5, v1, v2, 0.5 quad_perm:[3,2,1,0] row_mask:0xf bank_mask:0xf ; encoding: [0x05,0x00,0x5e,0xd6,0xfa,0x04,0xc2,0x03,0x01,0x1b,0x00,0xff]

v_maxmin_f32_e64_dpp v5, v1, v2, exec_hi quad_perm:[3,2,1,0]
// GFX11: v_maxmin_f32_e64_dpp v5, v1, v2, exec_hi quad_perm:[3,2,1,0] row_mask:0xf bank_mask:0xf ; encoding: [0x05,0x00,0x5e,0xd6,0xfa,0x04,0xfe,0x01,0x01,0x1b,0x00,0xff]

v_maxmin_f32_e64_dpp v5, v1, v2, exec_lo quad_perm:[3,2,1,0]
// GFX11: v_maxmin_f32_e64_dpp v5, v1, v2, exec_lo quad_perm:[3,2,1,0] row_mask:0xf bank_mask:0xf ; encoding: [0x05,0x00,0x5e,0xd6,0xfa,0x04,0xfa,0x01,0x01,0x1b,0x00,0xff]

v_maxmin_f32_e64_dpp v5, v1, v2, m0 quad_perm:[3,2,1,0]
// GFX11: v_maxmin_f32_e64_dpp v5, v1, v2, m0 quad_perm:[3,2,1,0] row_mask:0xf bank_mask:0xf ; encoding: [0x05,0x00,0x5e,0xd6,0xfa,0x04,0xf6,0x01,0x01,0x1b,0x00,0xff]

v_maxmin_f32_e64_dpp v5, v1, v2, null quad_perm:[3,2,1,0]
// GFX11: v_maxmin_f32_e64_dpp v5, v1, v2, null quad_perm:[3,2,1,0] row_mask:0xf bank_mask:0xf ; encoding: [0x05,0x00,0x5e,0xd6,0xfa,0x04,0xf2,0x01,0x01,0x1b,0x00,0xff]

v_maxmin_f32_e64_dpp v5, v1, v2, s105 quad_perm:[3,2,1,0]
// GFX11: v_maxmin_f32_e64_dpp v5, v1, v2, s105 quad_perm:[3,2,1,0] row_mask:0xf bank_mask:0xf ; encoding: [0x05,0x00,0x5e,0xd6,0xfa,0x04,0xa6,0x01,0x01,0x1b,0x00,0xff]

v_maxmin_f32_e64_dpp v5, v1, v2, s3 quad_perm:[3,2,1,0]
// GFX11: v_maxmin_f32_e64_dpp v5, v1, v2, s3 quad_perm:[3,2,1,0] row_mask:0xf bank_mask:0xf ; encoding: [0x05,0x00,0x5e,0xd6,0xfa,0x04,0x0e,0x00,0x01,0x1b,0x00,0xff]

v_maxmin_f32_e64_dpp v5, v1, v2, src_scc quad_perm:[3,2,1,0]
// GFX11: v_maxmin_f32_e64_dpp v5, v1, v2, src_scc quad_perm:[3,2,1,0] row_mask:0xf bank_mask:0xf ; encoding: [0x05,0x00,0x5e,0xd6,0xfa,0x04,0xf6,0x03,0x01,0x1b,0x00,0xff]

v_maxmin_f32_e64_dpp v5, v1, v2, ttmp15 quad_perm:[3,2,1,0]
// GFX11: v_maxmin_f32_e64_dpp v5, v1, v2, ttmp15 quad_perm:[3,2,1,0] row_mask:0xf bank_mask:0xf ; encoding: [0x05,0x00,0x5e,0xd6,0xfa,0x04,0xee,0x01,0x01,0x1b,0x00,0xff]

v_maxmin_f32_e64_dpp v5, v1, v2, v255 quad_perm:[3,2,1,0]
// GFX11: v_maxmin_f32_e64_dpp v5, v1, v2, v255 quad_perm:[3,2,1,0] row_mask:0xf bank_mask:0xf ; encoding: [0x05,0x00,0x5e,0xd6,0xfa,0x04,0xfe,0x07,0x01,0x1b,0x00,0xff]

v_maxmin_f32_e64_dpp v5, v1, v2, vcc_hi quad_perm:[3,2,1,0]
// GFX11: v_maxmin_f32_e64_dpp v5, v1, v2, vcc_hi quad_perm:[3,2,1,0] row_mask:0xf bank_mask:0xf ; encoding: [0x05,0x00,0x5e,0xd6,0xfa,0x04,0xae,0x01,0x01,0x1b,0x00,0xff]

v_maxmin_f32_e64_dpp v5, v1, v2, vcc_lo quad_perm:[3,2,1,0]
// GFX11: v_maxmin_f32_e64_dpp v5, v1, v2, vcc_lo quad_perm:[3,2,1,0] row_mask:0xf bank_mask:0xf ; encoding: [0x05,0x00,0x5e,0xd6,0xfa,0x04,0xaa,0x01,0x01,0x1b,0x00,0xff]

v_maxmin_f32_e64_dpp v5, v1, v2, -|0.5| quad_perm:[3,2,1,0]
// GFX11: v_maxmin_f32_e64_dpp v5, v1, v2, -|0.5| quad_perm:[3,2,1,0] row_mask:0xf bank_mask:0xf ; encoding: [0x05,0x04,0x5e,0xd6,0xfa,0x04,0xc2,0x83,0x01,0x1b,0x00,0xff]

v_maxmin_f32_e64_dpp v5, v1, v2, v3 quad_perm:[3,2,1,0] bound_ctrl:0
// GFX11: v_maxmin_f32_e64_dpp v5, v1, v2, v3 quad_perm:[3,2,1,0] row_mask:0xf bank_mask:0xf ; encoding: [0x05,0x00,0x5e,0xd6,0xfa,0x04,0x0e,0x04,0x01,0x1b,0x00,0xff]

v_maxmin_f32_e64_dpp v5, v1, v2, v3 quad_perm:[3,2,1,0] bound_ctrl:1
// GFX11: v_maxmin_f32_e64_dpp v5, v1, v2, v3 quad_perm:[3,2,1,0] row_mask:0xf bank_mask:0xf bound_ctrl:1 ; encoding: [0x05,0x00,0x5e,0xd6,0xfa,0x04,0x0e,0x04,0x01,0x1b,0x08,0xff]

v_maxmin_f32_e64_dpp v5, v1, v2, v3 quad_perm:[0,1,2,3]
// GFX11: v_maxmin_f32_e64_dpp v5, v1, v2, v3 quad_perm:[0,1,2,3] row_mask:0xf bank_mask:0xf ; encoding: [0x05,0x00,0x5e,0xd6,0xfa,0x04,0x0e,0x04,0x01,0xe4,0x00,0xff]

v_maxmin_f32_e64_dpp v5, v1, v2, v3 row_half_mirror
// GFX11: v_maxmin_f32_e64_dpp v5, v1, v2, v3 row_half_mirror row_mask:0xf bank_mask:0xf ; encoding: [0x05,0x00,0x5e,0xd6,0xfa,0x04,0x0e,0x04,0x01,0x41,0x01,0xff]

v_maxmin_f32_e64_dpp v5, v1, v2, v3 row_mirror
// GFX11: v_maxmin_f32_e64_dpp v5, v1, v2, v3 row_mirror row_mask:0xf bank_mask:0xf ; encoding: [0x05,0x00,0x5e,0xd6,0xfa,0x04,0x0e,0x04,0x01,0x40,0x01,0xff]

v_maxmin_f32_e64_dpp v5, v1, v2, v3 row_ror:1
// GFX11: v_maxmin_f32_e64_dpp v5, v1, v2, v3 row_ror:1 row_mask:0xf bank_mask:0xf ; encoding: [0x05,0x00,0x5e,0xd6,0xfa,0x04,0x0e,0x04,0x01,0x21,0x01,0xff]

v_maxmin_f32_e64_dpp v5, v1, v2, v3 row_ror:15
// GFX11: v_maxmin_f32_e64_dpp v5, v1, v2, v3 row_ror:15 row_mask:0xf bank_mask:0xf ; encoding: [0x05,0x00,0x5e,0xd6,0xfa,0x04,0x0e,0x04,0x01,0x2f,0x01,0xff]

v_maxmin_f32_e64_dpp v5, v1, v2, v3 row_share:0
// GFX11: v_maxmin_f32_e64_dpp v5, v1, v2, v3 row_share:0 row_mask:0xf bank_mask:0xf ; encoding: [0x05,0x00,0x5e,0xd6,0xfa,0x04,0x0e,0x04,0x01,0x50,0x01,0xff]

v_maxmin_f32_e64_dpp v5, v1, v2, v3 row_share:15
// GFX11: v_maxmin_f32_e64_dpp v5, v1, v2, v3 row_share:15 row_mask:0xf bank_mask:0xf ; encoding: [0x05,0x00,0x5e,0xd6,0xfa,0x04,0x0e,0x04,0x01,0x5f,0x01,0xff]

v_maxmin_f32_e64_dpp v5, v1, v2, v3 row_shl:1
// GFX11: v_maxmin_f32_e64_dpp v5, v1, v2, v3 row_shl:1 row_mask:0xf bank_mask:0xf ; encoding: [0x05,0x00,0x5e,0xd6,0xfa,0x04,0x0e,0x04,0x01,0x01,0x01,0xff]

v_maxmin_f32_e64_dpp v5, v1, v2, v3 row_shl:15
// GFX11: v_maxmin_f32_e64_dpp v5, v1, v2, v3 row_shl:15 row_mask:0xf bank_mask:0xf ; encoding: [0x05,0x00,0x5e,0xd6,0xfa,0x04,0x0e,0x04,0x01,0x0f,0x01,0xff]

v_maxmin_f32_e64_dpp v5, v1, v2, v3 row_shr:1
// GFX11: v_maxmin_f32_e64_dpp v5, v1, v2, v3 row_shr:1 row_mask:0xf bank_mask:0xf ; encoding: [0x05,0x00,0x5e,0xd6,0xfa,0x04,0x0e,0x04,0x01,0x11,0x01,0xff]

v_maxmin_f32_e64_dpp v5, v1, v2, v3 row_shr:15
// GFX11: v_maxmin_f32_e64_dpp v5, v1, v2, v3 row_shr:15 row_mask:0xf bank_mask:0xf ; encoding: [0x05,0x00,0x5e,0xd6,0xfa,0x04,0x0e,0x04,0x01,0x1f,0x01,0xff]

v_maxmin_f32_e64_dpp v5, v1, v2, v3 row_xmask:0
// GFX11: v_maxmin_f32_e64_dpp v5, v1, v2, v3 row_xmask:0 row_mask:0xf bank_mask:0xf ; encoding: [0x05,0x00,0x5e,0xd6,0xfa,0x04,0x0e,0x04,0x01,0x60,0x01,0xff]

v_maxmin_f32_e64_dpp v5, v1, v2, v3 row_xmask:15
// GFX11: v_maxmin_f32_e64_dpp v5, v1, v2, v3 row_xmask:15 row_mask:0xf bank_mask:0xf ; encoding: [0x05,0x00,0x5e,0xd6,0xfa,0x04,0x0e,0x04,0x01,0x6f,0x01,0xff]

v_maxmin_f32_e64_dpp v5, v1, v2, v3 quad_perm:[3,2,1,0] fi:0
// GFX11: v_maxmin_f32_e64_dpp v5, v1, v2, v3 quad_perm:[3,2,1,0] row_mask:0xf bank_mask:0xf ; encoding: [0x05,0x00,0x5e,0xd6,0xfa,0x04,0x0e,0x04,0x01,0x1b,0x00,0xff]

v_maxmin_f32_e64_dpp v5, v1, v2, v3 quad_perm:[3,2,1,0] fi:1
// GFX11: v_maxmin_f32_e64_dpp v5, v1, v2, v3 quad_perm:[3,2,1,0] row_mask:0xf bank_mask:0xf fi:1 ; encoding: [0x05,0x00,0x5e,0xd6,0xfa,0x04,0x0e,0x04,0x01,0x1b,0x04,0xff]

v_maxmin_f32_e64_dpp v5, v1, v2, v3 div:2 quad_perm:[3,2,1,0]
// GFX11: v_maxmin_f32_e64_dpp v5, v1, v2, v3 div:2 quad_perm:[3,2,1,0] row_mask:0xf bank_mask:0xf ; encoding: [0x05,0x00,0x5e,0xd6,0xfa,0x04,0x0e,0x1c,0x01,0x1b,0x00,0xff]

v_maxmin_f32_e64_dpp v5, v1, v2, v3 mul:2 quad_perm:[3,2,1,0]
// GFX11: v_maxmin_f32_e64_dpp v5, v1, v2, v3 mul:2 quad_perm:[3,2,1,0] row_mask:0xf bank_mask:0xf ; encoding: [0x05,0x00,0x5e,0xd6,0xfa,0x04,0x0e,0x0c,0x01,0x1b,0x00,0xff]

v_maxmin_f32_e64_dpp v5, v1, v2, v3 mul:4 quad_perm:[3,2,1,0]
// GFX11: v_maxmin_f32_e64_dpp v5, v1, v2, v3 mul:4 quad_perm:[3,2,1,0] row_mask:0xf bank_mask:0xf ; encoding: [0x05,0x00,0x5e,0xd6,0xfa,0x04,0x0e,0x14,0x01,0x1b,0x00,0xff]

v_maxmin_f32_e64_dpp v5, v1, v2, v3 quad_perm:[3,2,1,0] row_mask:0x0 bank_mask:0x1
// GFX11: v_maxmin_f32_e64_dpp v5, v1, v2, v3 quad_perm:[3,2,1,0] row_mask:0x0 bank_mask:0x1 ; encoding: [0x05,0x00,0x5e,0xd6,0xfa,0x04,0x0e,0x04,0x01,0x1b,0x00,0x01]

v_maxmin_f32_e64_dpp v5, v1, v2, v3 quad_perm:[3,2,1,0] row_mask:0x3 bank_mask:0x0
// GFX11: v_maxmin_f32_e64_dpp v5, v1, v2, v3 quad_perm:[3,2,1,0] row_mask:0x3 bank_mask:0x0 ; encoding: [0x05,0x00,0x5e,0xd6,0xfa,0x04,0x0e,0x04,0x01,0x1b,0x00,0x30]
	;; [unrolled: 3-line block ×3, first 2 shown]

v_maxmin_f32_e64_dpp v5, v1, v2, v3 clamp quad_perm:[3,2,1,0]
// GFX11: v_maxmin_f32_e64_dpp v5, v1, v2, v3 clamp quad_perm:[3,2,1,0] row_mask:0xf bank_mask:0xf ; encoding: [0x05,0x80,0x5e,0xd6,0xfa,0x04,0x0e,0x04,0x01,0x1b,0x00,0xff]

v_maxmin_i32_e64_dpp v5, v1, v2, v3 quad_perm:[3,2,1,0]
// GFX11: v_maxmin_i32_e64_dpp v5, v1, v2, v3 quad_perm:[3,2,1,0] row_mask:0xf bank_mask:0xf ; encoding: [0x05,0x00,0x64,0xd6,0xfa,0x04,0x0e,0x04,0x01,0x1b,0x00,0xff]

v_maxmin_i32_e64_dpp v255, v255, v255, v255 quad_perm:[3,2,1,0]
// GFX11: v_maxmin_i32_e64_dpp v255, v255, v255, v255 quad_perm:[3,2,1,0] row_mask:0xf bank_mask:0xf ; encoding: [0xff,0x00,0x64,0xd6,0xfa,0xfe,0xff,0x07,0xff,0x1b,0x00,0xff]

v_maxmin_i32_e64_dpp v5, v1, v2, -1 quad_perm:[3,2,1,0]
// GFX11: v_maxmin_i32_e64_dpp v5, v1, v2, -1 quad_perm:[3,2,1,0] row_mask:0xf bank_mask:0xf ; encoding: [0x05,0x00,0x64,0xd6,0xfa,0x04,0x06,0x03,0x01,0x1b,0x00,0xff]

v_maxmin_i32_e64_dpp v5, v1, v2, 0.5 quad_perm:[3,2,1,0]
// GFX11: v_maxmin_i32_e64_dpp v5, v1, v2, 0.5 quad_perm:[3,2,1,0] row_mask:0xf bank_mask:0xf ; encoding: [0x05,0x00,0x64,0xd6,0xfa,0x04,0xc2,0x03,0x01,0x1b,0x00,0xff]

v_maxmin_i32_e64_dpp v5, v1, v2, exec_hi quad_perm:[3,2,1,0]
// GFX11: v_maxmin_i32_e64_dpp v5, v1, v2, exec_hi quad_perm:[3,2,1,0] row_mask:0xf bank_mask:0xf ; encoding: [0x05,0x00,0x64,0xd6,0xfa,0x04,0xfe,0x01,0x01,0x1b,0x00,0xff]

v_maxmin_i32_e64_dpp v5, v1, v2, exec_lo quad_perm:[3,2,1,0]
// GFX11: v_maxmin_i32_e64_dpp v5, v1, v2, exec_lo quad_perm:[3,2,1,0] row_mask:0xf bank_mask:0xf ; encoding: [0x05,0x00,0x64,0xd6,0xfa,0x04,0xfa,0x01,0x01,0x1b,0x00,0xff]

v_maxmin_i32_e64_dpp v5, v1, v2, m0 quad_perm:[3,2,1,0]
// GFX11: v_maxmin_i32_e64_dpp v5, v1, v2, m0 quad_perm:[3,2,1,0] row_mask:0xf bank_mask:0xf ; encoding: [0x05,0x00,0x64,0xd6,0xfa,0x04,0xf6,0x01,0x01,0x1b,0x00,0xff]

v_maxmin_i32_e64_dpp v5, v1, v2, null quad_perm:[3,2,1,0]
// GFX11: v_maxmin_i32_e64_dpp v5, v1, v2, null quad_perm:[3,2,1,0] row_mask:0xf bank_mask:0xf ; encoding: [0x05,0x00,0x64,0xd6,0xfa,0x04,0xf2,0x01,0x01,0x1b,0x00,0xff]

v_maxmin_i32_e64_dpp v5, v1, v2, s105 quad_perm:[3,2,1,0]
// GFX11: v_maxmin_i32_e64_dpp v5, v1, v2, s105 quad_perm:[3,2,1,0] row_mask:0xf bank_mask:0xf ; encoding: [0x05,0x00,0x64,0xd6,0xfa,0x04,0xa6,0x01,0x01,0x1b,0x00,0xff]

v_maxmin_i32_e64_dpp v5, v1, v2, s3 quad_perm:[3,2,1,0]
// GFX11: v_maxmin_i32_e64_dpp v5, v1, v2, s3 quad_perm:[3,2,1,0] row_mask:0xf bank_mask:0xf ; encoding: [0x05,0x00,0x64,0xd6,0xfa,0x04,0x0e,0x00,0x01,0x1b,0x00,0xff]

v_maxmin_i32_e64_dpp v5, v1, v2, src_scc quad_perm:[3,2,1,0]
// GFX11: v_maxmin_i32_e64_dpp v5, v1, v2, src_scc quad_perm:[3,2,1,0] row_mask:0xf bank_mask:0xf ; encoding: [0x05,0x00,0x64,0xd6,0xfa,0x04,0xf6,0x03,0x01,0x1b,0x00,0xff]

v_maxmin_i32_e64_dpp v5, v1, v2, ttmp15 quad_perm:[3,2,1,0]
// GFX11: v_maxmin_i32_e64_dpp v5, v1, v2, ttmp15 quad_perm:[3,2,1,0] row_mask:0xf bank_mask:0xf ; encoding: [0x05,0x00,0x64,0xd6,0xfa,0x04,0xee,0x01,0x01,0x1b,0x00,0xff]

v_maxmin_i32_e64_dpp v5, v1, v2, v255 quad_perm:[3,2,1,0]
// GFX11: v_maxmin_i32_e64_dpp v5, v1, v2, v255 quad_perm:[3,2,1,0] row_mask:0xf bank_mask:0xf ; encoding: [0x05,0x00,0x64,0xd6,0xfa,0x04,0xfe,0x07,0x01,0x1b,0x00,0xff]

v_maxmin_i32_e64_dpp v5, v1, v2, vcc_hi quad_perm:[3,2,1,0]
// GFX11: v_maxmin_i32_e64_dpp v5, v1, v2, vcc_hi quad_perm:[3,2,1,0] row_mask:0xf bank_mask:0xf ; encoding: [0x05,0x00,0x64,0xd6,0xfa,0x04,0xae,0x01,0x01,0x1b,0x00,0xff]

v_maxmin_i32_e64_dpp v5, v1, v2, vcc_lo quad_perm:[3,2,1,0]
// GFX11: v_maxmin_i32_e64_dpp v5, v1, v2, vcc_lo quad_perm:[3,2,1,0] row_mask:0xf bank_mask:0xf ; encoding: [0x05,0x00,0x64,0xd6,0xfa,0x04,0xaa,0x01,0x01,0x1b,0x00,0xff]

v_maxmin_i32_e64_dpp v5, v1, v2, v3 quad_perm:[3,2,1,0] bound_ctrl:0
// GFX11: v_maxmin_i32_e64_dpp v5, v1, v2, v3 quad_perm:[3,2,1,0] row_mask:0xf bank_mask:0xf ; encoding: [0x05,0x00,0x64,0xd6,0xfa,0x04,0x0e,0x04,0x01,0x1b,0x00,0xff]

v_maxmin_i32_e64_dpp v5, v1, v2, v3 quad_perm:[3,2,1,0] bound_ctrl:1
// GFX11: v_maxmin_i32_e64_dpp v5, v1, v2, v3 quad_perm:[3,2,1,0] row_mask:0xf bank_mask:0xf bound_ctrl:1 ; encoding: [0x05,0x00,0x64,0xd6,0xfa,0x04,0x0e,0x04,0x01,0x1b,0x08,0xff]

v_maxmin_i32_e64_dpp v5, v1, v2, v3 quad_perm:[0,1,2,3]
// GFX11: v_maxmin_i32_e64_dpp v5, v1, v2, v3 quad_perm:[0,1,2,3] row_mask:0xf bank_mask:0xf ; encoding: [0x05,0x00,0x64,0xd6,0xfa,0x04,0x0e,0x04,0x01,0xe4,0x00,0xff]

v_maxmin_i32_e64_dpp v5, v1, v2, v3 row_half_mirror
// GFX11: v_maxmin_i32_e64_dpp v5, v1, v2, v3 row_half_mirror row_mask:0xf bank_mask:0xf ; encoding: [0x05,0x00,0x64,0xd6,0xfa,0x04,0x0e,0x04,0x01,0x41,0x01,0xff]

v_maxmin_i32_e64_dpp v5, v1, v2, v3 row_mirror
// GFX11: v_maxmin_i32_e64_dpp v5, v1, v2, v3 row_mirror row_mask:0xf bank_mask:0xf ; encoding: [0x05,0x00,0x64,0xd6,0xfa,0x04,0x0e,0x04,0x01,0x40,0x01,0xff]

v_maxmin_i32_e64_dpp v5, v1, v2, v3 row_ror:1
// GFX11: v_maxmin_i32_e64_dpp v5, v1, v2, v3 row_ror:1 row_mask:0xf bank_mask:0xf ; encoding: [0x05,0x00,0x64,0xd6,0xfa,0x04,0x0e,0x04,0x01,0x21,0x01,0xff]

v_maxmin_i32_e64_dpp v5, v1, v2, v3 row_ror:15
// GFX11: v_maxmin_i32_e64_dpp v5, v1, v2, v3 row_ror:15 row_mask:0xf bank_mask:0xf ; encoding: [0x05,0x00,0x64,0xd6,0xfa,0x04,0x0e,0x04,0x01,0x2f,0x01,0xff]

v_maxmin_i32_e64_dpp v5, v1, v2, v3 row_share:0
// GFX11: v_maxmin_i32_e64_dpp v5, v1, v2, v3 row_share:0 row_mask:0xf bank_mask:0xf ; encoding: [0x05,0x00,0x64,0xd6,0xfa,0x04,0x0e,0x04,0x01,0x50,0x01,0xff]

v_maxmin_i32_e64_dpp v5, v1, v2, v3 row_share:15
// GFX11: v_maxmin_i32_e64_dpp v5, v1, v2, v3 row_share:15 row_mask:0xf bank_mask:0xf ; encoding: [0x05,0x00,0x64,0xd6,0xfa,0x04,0x0e,0x04,0x01,0x5f,0x01,0xff]

v_maxmin_i32_e64_dpp v5, v1, v2, v3 row_shl:1
// GFX11: v_maxmin_i32_e64_dpp v5, v1, v2, v3 row_shl:1 row_mask:0xf bank_mask:0xf ; encoding: [0x05,0x00,0x64,0xd6,0xfa,0x04,0x0e,0x04,0x01,0x01,0x01,0xff]

v_maxmin_i32_e64_dpp v5, v1, v2, v3 row_shl:15
// GFX11: v_maxmin_i32_e64_dpp v5, v1, v2, v3 row_shl:15 row_mask:0xf bank_mask:0xf ; encoding: [0x05,0x00,0x64,0xd6,0xfa,0x04,0x0e,0x04,0x01,0x0f,0x01,0xff]

v_maxmin_i32_e64_dpp v5, v1, v2, v3 row_shr:1
// GFX11: v_maxmin_i32_e64_dpp v5, v1, v2, v3 row_shr:1 row_mask:0xf bank_mask:0xf ; encoding: [0x05,0x00,0x64,0xd6,0xfa,0x04,0x0e,0x04,0x01,0x11,0x01,0xff]

v_maxmin_i32_e64_dpp v5, v1, v2, v3 row_shr:15
// GFX11: v_maxmin_i32_e64_dpp v5, v1, v2, v3 row_shr:15 row_mask:0xf bank_mask:0xf ; encoding: [0x05,0x00,0x64,0xd6,0xfa,0x04,0x0e,0x04,0x01,0x1f,0x01,0xff]

v_maxmin_i32_e64_dpp v5, v1, v2, v3 row_xmask:0
// GFX11: v_maxmin_i32_e64_dpp v5, v1, v2, v3 row_xmask:0 row_mask:0xf bank_mask:0xf ; encoding: [0x05,0x00,0x64,0xd6,0xfa,0x04,0x0e,0x04,0x01,0x60,0x01,0xff]

v_maxmin_i32_e64_dpp v5, v1, v2, v3 row_xmask:15
// GFX11: v_maxmin_i32_e64_dpp v5, v1, v2, v3 row_xmask:15 row_mask:0xf bank_mask:0xf ; encoding: [0x05,0x00,0x64,0xd6,0xfa,0x04,0x0e,0x04,0x01,0x6f,0x01,0xff]

v_maxmin_i32_e64_dpp v5, v1, v2, v3 quad_perm:[3,2,1,0] fi:0
// GFX11: v_maxmin_i32_e64_dpp v5, v1, v2, v3 quad_perm:[3,2,1,0] row_mask:0xf bank_mask:0xf ; encoding: [0x05,0x00,0x64,0xd6,0xfa,0x04,0x0e,0x04,0x01,0x1b,0x00,0xff]

v_maxmin_i32_e64_dpp v5, v1, v2, v3 quad_perm:[3,2,1,0] fi:1
// GFX11: v_maxmin_i32_e64_dpp v5, v1, v2, v3 quad_perm:[3,2,1,0] row_mask:0xf bank_mask:0xf fi:1 ; encoding: [0x05,0x00,0x64,0xd6,0xfa,0x04,0x0e,0x04,0x01,0x1b,0x04,0xff]

v_maxmin_i32_e64_dpp v5, v1, v2, v3 quad_perm:[3,2,1,0] row_mask:0x0 bank_mask:0x1
// GFX11: v_maxmin_i32_e64_dpp v5, v1, v2, v3 quad_perm:[3,2,1,0] row_mask:0x0 bank_mask:0x1 ; encoding: [0x05,0x00,0x64,0xd6,0xfa,0x04,0x0e,0x04,0x01,0x1b,0x00,0x01]

v_maxmin_i32_e64_dpp v5, v1, v2, v3 quad_perm:[3,2,1,0] row_mask:0x3 bank_mask:0x0
// GFX11: v_maxmin_i32_e64_dpp v5, v1, v2, v3 quad_perm:[3,2,1,0] row_mask:0x3 bank_mask:0x0 ; encoding: [0x05,0x00,0x64,0xd6,0xfa,0x04,0x0e,0x04,0x01,0x1b,0x00,0x30]
	;; [unrolled: 3-line block ×3, first 2 shown]

v_maxmin_u32_e64_dpp v5, v1, v2, v3 quad_perm:[3,2,1,0]
// GFX11: v_maxmin_u32_e64_dpp v5, v1, v2, v3 quad_perm:[3,2,1,0] row_mask:0xf bank_mask:0xf ; encoding: [0x05,0x00,0x62,0xd6,0xfa,0x04,0x0e,0x04,0x01,0x1b,0x00,0xff]

v_maxmin_u32_e64_dpp v255, v255, v255, v255 quad_perm:[3,2,1,0]
// GFX11: v_maxmin_u32_e64_dpp v255, v255, v255, v255 quad_perm:[3,2,1,0] row_mask:0xf bank_mask:0xf ; encoding: [0xff,0x00,0x62,0xd6,0xfa,0xfe,0xff,0x07,0xff,0x1b,0x00,0xff]

v_maxmin_u32_e64_dpp v5, v1, v2, -1 quad_perm:[3,2,1,0]
// GFX11: v_maxmin_u32_e64_dpp v5, v1, v2, -1 quad_perm:[3,2,1,0] row_mask:0xf bank_mask:0xf ; encoding: [0x05,0x00,0x62,0xd6,0xfa,0x04,0x06,0x03,0x01,0x1b,0x00,0xff]

v_maxmin_u32_e64_dpp v5, v1, v2, 0.5 quad_perm:[3,2,1,0]
// GFX11: v_maxmin_u32_e64_dpp v5, v1, v2, 0.5 quad_perm:[3,2,1,0] row_mask:0xf bank_mask:0xf ; encoding: [0x05,0x00,0x62,0xd6,0xfa,0x04,0xc2,0x03,0x01,0x1b,0x00,0xff]

v_maxmin_u32_e64_dpp v5, v1, v2, exec_hi quad_perm:[3,2,1,0]
// GFX11: v_maxmin_u32_e64_dpp v5, v1, v2, exec_hi quad_perm:[3,2,1,0] row_mask:0xf bank_mask:0xf ; encoding: [0x05,0x00,0x62,0xd6,0xfa,0x04,0xfe,0x01,0x01,0x1b,0x00,0xff]

v_maxmin_u32_e64_dpp v5, v1, v2, exec_lo quad_perm:[3,2,1,0]
// GFX11: v_maxmin_u32_e64_dpp v5, v1, v2, exec_lo quad_perm:[3,2,1,0] row_mask:0xf bank_mask:0xf ; encoding: [0x05,0x00,0x62,0xd6,0xfa,0x04,0xfa,0x01,0x01,0x1b,0x00,0xff]

v_maxmin_u32_e64_dpp v5, v1, v2, m0 quad_perm:[3,2,1,0]
// GFX11: v_maxmin_u32_e64_dpp v5, v1, v2, m0 quad_perm:[3,2,1,0] row_mask:0xf bank_mask:0xf ; encoding: [0x05,0x00,0x62,0xd6,0xfa,0x04,0xf6,0x01,0x01,0x1b,0x00,0xff]

v_maxmin_u32_e64_dpp v5, v1, v2, null quad_perm:[3,2,1,0]
// GFX11: v_maxmin_u32_e64_dpp v5, v1, v2, null quad_perm:[3,2,1,0] row_mask:0xf bank_mask:0xf ; encoding: [0x05,0x00,0x62,0xd6,0xfa,0x04,0xf2,0x01,0x01,0x1b,0x00,0xff]

v_maxmin_u32_e64_dpp v5, v1, v2, s105 quad_perm:[3,2,1,0]
// GFX11: v_maxmin_u32_e64_dpp v5, v1, v2, s105 quad_perm:[3,2,1,0] row_mask:0xf bank_mask:0xf ; encoding: [0x05,0x00,0x62,0xd6,0xfa,0x04,0xa6,0x01,0x01,0x1b,0x00,0xff]

v_maxmin_u32_e64_dpp v5, v1, v2, s3 quad_perm:[3,2,1,0]
// GFX11: v_maxmin_u32_e64_dpp v5, v1, v2, s3 quad_perm:[3,2,1,0] row_mask:0xf bank_mask:0xf ; encoding: [0x05,0x00,0x62,0xd6,0xfa,0x04,0x0e,0x00,0x01,0x1b,0x00,0xff]

v_maxmin_u32_e64_dpp v5, v1, v2, src_scc quad_perm:[3,2,1,0]
// GFX11: v_maxmin_u32_e64_dpp v5, v1, v2, src_scc quad_perm:[3,2,1,0] row_mask:0xf bank_mask:0xf ; encoding: [0x05,0x00,0x62,0xd6,0xfa,0x04,0xf6,0x03,0x01,0x1b,0x00,0xff]

v_maxmin_u32_e64_dpp v5, v1, v2, ttmp15 quad_perm:[3,2,1,0]
// GFX11: v_maxmin_u32_e64_dpp v5, v1, v2, ttmp15 quad_perm:[3,2,1,0] row_mask:0xf bank_mask:0xf ; encoding: [0x05,0x00,0x62,0xd6,0xfa,0x04,0xee,0x01,0x01,0x1b,0x00,0xff]

v_maxmin_u32_e64_dpp v5, v1, v2, v255 quad_perm:[3,2,1,0]
// GFX11: v_maxmin_u32_e64_dpp v5, v1, v2, v255 quad_perm:[3,2,1,0] row_mask:0xf bank_mask:0xf ; encoding: [0x05,0x00,0x62,0xd6,0xfa,0x04,0xfe,0x07,0x01,0x1b,0x00,0xff]

v_maxmin_u32_e64_dpp v5, v1, v2, vcc_hi quad_perm:[3,2,1,0]
// GFX11: v_maxmin_u32_e64_dpp v5, v1, v2, vcc_hi quad_perm:[3,2,1,0] row_mask:0xf bank_mask:0xf ; encoding: [0x05,0x00,0x62,0xd6,0xfa,0x04,0xae,0x01,0x01,0x1b,0x00,0xff]

v_maxmin_u32_e64_dpp v5, v1, v2, vcc_lo quad_perm:[3,2,1,0]
// GFX11: v_maxmin_u32_e64_dpp v5, v1, v2, vcc_lo quad_perm:[3,2,1,0] row_mask:0xf bank_mask:0xf ; encoding: [0x05,0x00,0x62,0xd6,0xfa,0x04,0xaa,0x01,0x01,0x1b,0x00,0xff]

v_maxmin_u32_e64_dpp v5, v1, v2, v3 quad_perm:[3,2,1,0] bound_ctrl:0
// GFX11: v_maxmin_u32_e64_dpp v5, v1, v2, v3 quad_perm:[3,2,1,0] row_mask:0xf bank_mask:0xf ; encoding: [0x05,0x00,0x62,0xd6,0xfa,0x04,0x0e,0x04,0x01,0x1b,0x00,0xff]

v_maxmin_u32_e64_dpp v5, v1, v2, v3 quad_perm:[3,2,1,0] bound_ctrl:1
// GFX11: v_maxmin_u32_e64_dpp v5, v1, v2, v3 quad_perm:[3,2,1,0] row_mask:0xf bank_mask:0xf bound_ctrl:1 ; encoding: [0x05,0x00,0x62,0xd6,0xfa,0x04,0x0e,0x04,0x01,0x1b,0x08,0xff]

v_maxmin_u32_e64_dpp v5, v1, v2, v3 quad_perm:[0,1,2,3]
// GFX11: v_maxmin_u32_e64_dpp v5, v1, v2, v3 quad_perm:[0,1,2,3] row_mask:0xf bank_mask:0xf ; encoding: [0x05,0x00,0x62,0xd6,0xfa,0x04,0x0e,0x04,0x01,0xe4,0x00,0xff]

v_maxmin_u32_e64_dpp v5, v1, v2, v3 row_half_mirror
// GFX11: v_maxmin_u32_e64_dpp v5, v1, v2, v3 row_half_mirror row_mask:0xf bank_mask:0xf ; encoding: [0x05,0x00,0x62,0xd6,0xfa,0x04,0x0e,0x04,0x01,0x41,0x01,0xff]

v_maxmin_u32_e64_dpp v5, v1, v2, v3 row_mirror
// GFX11: v_maxmin_u32_e64_dpp v5, v1, v2, v3 row_mirror row_mask:0xf bank_mask:0xf ; encoding: [0x05,0x00,0x62,0xd6,0xfa,0x04,0x0e,0x04,0x01,0x40,0x01,0xff]

v_maxmin_u32_e64_dpp v5, v1, v2, v3 row_ror:1
// GFX11: v_maxmin_u32_e64_dpp v5, v1, v2, v3 row_ror:1 row_mask:0xf bank_mask:0xf ; encoding: [0x05,0x00,0x62,0xd6,0xfa,0x04,0x0e,0x04,0x01,0x21,0x01,0xff]

v_maxmin_u32_e64_dpp v5, v1, v2, v3 row_ror:15
// GFX11: v_maxmin_u32_e64_dpp v5, v1, v2, v3 row_ror:15 row_mask:0xf bank_mask:0xf ; encoding: [0x05,0x00,0x62,0xd6,0xfa,0x04,0x0e,0x04,0x01,0x2f,0x01,0xff]

v_maxmin_u32_e64_dpp v5, v1, v2, v3 row_share:0
// GFX11: v_maxmin_u32_e64_dpp v5, v1, v2, v3 row_share:0 row_mask:0xf bank_mask:0xf ; encoding: [0x05,0x00,0x62,0xd6,0xfa,0x04,0x0e,0x04,0x01,0x50,0x01,0xff]

v_maxmin_u32_e64_dpp v5, v1, v2, v3 row_share:15
// GFX11: v_maxmin_u32_e64_dpp v5, v1, v2, v3 row_share:15 row_mask:0xf bank_mask:0xf ; encoding: [0x05,0x00,0x62,0xd6,0xfa,0x04,0x0e,0x04,0x01,0x5f,0x01,0xff]

v_maxmin_u32_e64_dpp v5, v1, v2, v3 row_shl:1
// GFX11: v_maxmin_u32_e64_dpp v5, v1, v2, v3 row_shl:1 row_mask:0xf bank_mask:0xf ; encoding: [0x05,0x00,0x62,0xd6,0xfa,0x04,0x0e,0x04,0x01,0x01,0x01,0xff]

v_maxmin_u32_e64_dpp v5, v1, v2, v3 row_shl:15
// GFX11: v_maxmin_u32_e64_dpp v5, v1, v2, v3 row_shl:15 row_mask:0xf bank_mask:0xf ; encoding: [0x05,0x00,0x62,0xd6,0xfa,0x04,0x0e,0x04,0x01,0x0f,0x01,0xff]

v_maxmin_u32_e64_dpp v5, v1, v2, v3 row_shr:1
// GFX11: v_maxmin_u32_e64_dpp v5, v1, v2, v3 row_shr:1 row_mask:0xf bank_mask:0xf ; encoding: [0x05,0x00,0x62,0xd6,0xfa,0x04,0x0e,0x04,0x01,0x11,0x01,0xff]

v_maxmin_u32_e64_dpp v5, v1, v2, v3 row_shr:15
// GFX11: v_maxmin_u32_e64_dpp v5, v1, v2, v3 row_shr:15 row_mask:0xf bank_mask:0xf ; encoding: [0x05,0x00,0x62,0xd6,0xfa,0x04,0x0e,0x04,0x01,0x1f,0x01,0xff]

v_maxmin_u32_e64_dpp v5, v1, v2, v3 row_xmask:0
// GFX11: v_maxmin_u32_e64_dpp v5, v1, v2, v3 row_xmask:0 row_mask:0xf bank_mask:0xf ; encoding: [0x05,0x00,0x62,0xd6,0xfa,0x04,0x0e,0x04,0x01,0x60,0x01,0xff]

v_maxmin_u32_e64_dpp v5, v1, v2, v3 row_xmask:15
// GFX11: v_maxmin_u32_e64_dpp v5, v1, v2, v3 row_xmask:15 row_mask:0xf bank_mask:0xf ; encoding: [0x05,0x00,0x62,0xd6,0xfa,0x04,0x0e,0x04,0x01,0x6f,0x01,0xff]

v_maxmin_u32_e64_dpp v5, v1, v2, v3 quad_perm:[3,2,1,0] fi:0
// GFX11: v_maxmin_u32_e64_dpp v5, v1, v2, v3 quad_perm:[3,2,1,0] row_mask:0xf bank_mask:0xf ; encoding: [0x05,0x00,0x62,0xd6,0xfa,0x04,0x0e,0x04,0x01,0x1b,0x00,0xff]

v_maxmin_u32_e64_dpp v5, v1, v2, v3 quad_perm:[3,2,1,0] fi:1
// GFX11: v_maxmin_u32_e64_dpp v5, v1, v2, v3 quad_perm:[3,2,1,0] row_mask:0xf bank_mask:0xf fi:1 ; encoding: [0x05,0x00,0x62,0xd6,0xfa,0x04,0x0e,0x04,0x01,0x1b,0x04,0xff]

v_maxmin_u32_e64_dpp v5, v1, v2, v3 quad_perm:[3,2,1,0] row_mask:0x0 bank_mask:0x1
// GFX11: v_maxmin_u32_e64_dpp v5, v1, v2, v3 quad_perm:[3,2,1,0] row_mask:0x0 bank_mask:0x1 ; encoding: [0x05,0x00,0x62,0xd6,0xfa,0x04,0x0e,0x04,0x01,0x1b,0x00,0x01]

v_maxmin_u32_e64_dpp v5, v1, v2, v3 quad_perm:[3,2,1,0] row_mask:0x3 bank_mask:0x0
// GFX11: v_maxmin_u32_e64_dpp v5, v1, v2, v3 quad_perm:[3,2,1,0] row_mask:0x3 bank_mask:0x0 ; encoding: [0x05,0x00,0x62,0xd6,0xfa,0x04,0x0e,0x04,0x01,0x1b,0x00,0x30]
	;; [unrolled: 3-line block ×3, first 2 shown]

v_mbcnt_hi_u32_b32_e64_dpp v5, v1, v2 quad_perm:[3,2,1,0]
// GFX11: v_mbcnt_hi_u32_b32_e64_dpp v5, v1, v2 quad_perm:[3,2,1,0] row_mask:0xf bank_mask:0xf ; encoding: [0x05,0x00,0x20,0xd7,0xfa,0x04,0x02,0x00,0x01,0x1b,0x00,0xff]

v_mbcnt_hi_u32_b32_e64_dpp v255, v255, v255 quad_perm:[3,2,1,0]
// GFX11: v_mbcnt_hi_u32_b32_e64_dpp v255, v255, v255 quad_perm:[3,2,1,0] row_mask:0xf bank_mask:0xf ; encoding: [0xff,0x00,0x20,0xd7,0xfa,0xfe,0x03,0x00,0xff,0x1b,0x00,0xff]

v_mbcnt_hi_u32_b32_e64_dpp v5, v1, v2 quad_perm:[3,2,1,0] bound_ctrl:0
// GFX11: v_mbcnt_hi_u32_b32_e64_dpp v5, v1, v2 quad_perm:[3,2,1,0] row_mask:0xf bank_mask:0xf ; encoding: [0x05,0x00,0x20,0xd7,0xfa,0x04,0x02,0x00,0x01,0x1b,0x00,0xff]

v_mbcnt_hi_u32_b32_e64_dpp v5, v1, v2 quad_perm:[3,2,1,0] bound_ctrl:1
// GFX11: v_mbcnt_hi_u32_b32_e64_dpp v5, v1, v2 quad_perm:[3,2,1,0] row_mask:0xf bank_mask:0xf bound_ctrl:1 ; encoding: [0x05,0x00,0x20,0xd7,0xfa,0x04,0x02,0x00,0x01,0x1b,0x08,0xff]

v_mbcnt_hi_u32_b32_e64_dpp v5, v1, v2 quad_perm:[0,1,2,3]
// GFX11: v_mbcnt_hi_u32_b32_e64_dpp v5, v1, v2 quad_perm:[0,1,2,3] row_mask:0xf bank_mask:0xf ; encoding: [0x05,0x00,0x20,0xd7,0xfa,0x04,0x02,0x00,0x01,0xe4,0x00,0xff]

v_mbcnt_hi_u32_b32_e64_dpp v5, v1, v2 row_half_mirror
// GFX11: v_mbcnt_hi_u32_b32_e64_dpp v5, v1, v2 row_half_mirror row_mask:0xf bank_mask:0xf ; encoding: [0x05,0x00,0x20,0xd7,0xfa,0x04,0x02,0x00,0x01,0x41,0x01,0xff]

v_mbcnt_hi_u32_b32_e64_dpp v5, v1, v2 row_mirror
// GFX11: v_mbcnt_hi_u32_b32_e64_dpp v5, v1, v2 row_mirror row_mask:0xf bank_mask:0xf ; encoding: [0x05,0x00,0x20,0xd7,0xfa,0x04,0x02,0x00,0x01,0x40,0x01,0xff]

v_mbcnt_hi_u32_b32_e64_dpp v5, v1, v2 row_ror:1
// GFX11: v_mbcnt_hi_u32_b32_e64_dpp v5, v1, v2 row_ror:1 row_mask:0xf bank_mask:0xf ; encoding: [0x05,0x00,0x20,0xd7,0xfa,0x04,0x02,0x00,0x01,0x21,0x01,0xff]

v_mbcnt_hi_u32_b32_e64_dpp v5, v1, v2 row_ror:15
// GFX11: v_mbcnt_hi_u32_b32_e64_dpp v5, v1, v2 row_ror:15 row_mask:0xf bank_mask:0xf ; encoding: [0x05,0x00,0x20,0xd7,0xfa,0x04,0x02,0x00,0x01,0x2f,0x01,0xff]

v_mbcnt_hi_u32_b32_e64_dpp v5, v1, v2 row_share:0
// GFX11: v_mbcnt_hi_u32_b32_e64_dpp v5, v1, v2 row_share:0 row_mask:0xf bank_mask:0xf ; encoding: [0x05,0x00,0x20,0xd7,0xfa,0x04,0x02,0x00,0x01,0x50,0x01,0xff]

v_mbcnt_hi_u32_b32_e64_dpp v5, v1, v2 row_share:15
// GFX11: v_mbcnt_hi_u32_b32_e64_dpp v5, v1, v2 row_share:15 row_mask:0xf bank_mask:0xf ; encoding: [0x05,0x00,0x20,0xd7,0xfa,0x04,0x02,0x00,0x01,0x5f,0x01,0xff]

v_mbcnt_hi_u32_b32_e64_dpp v5, v1, v2 row_shl:1
// GFX11: v_mbcnt_hi_u32_b32_e64_dpp v5, v1, v2 row_shl:1 row_mask:0xf bank_mask:0xf ; encoding: [0x05,0x00,0x20,0xd7,0xfa,0x04,0x02,0x00,0x01,0x01,0x01,0xff]

v_mbcnt_hi_u32_b32_e64_dpp v5, v1, v2 row_shl:15
// GFX11: v_mbcnt_hi_u32_b32_e64_dpp v5, v1, v2 row_shl:15 row_mask:0xf bank_mask:0xf ; encoding: [0x05,0x00,0x20,0xd7,0xfa,0x04,0x02,0x00,0x01,0x0f,0x01,0xff]

v_mbcnt_hi_u32_b32_e64_dpp v5, v1, v2 row_shr:1
// GFX11: v_mbcnt_hi_u32_b32_e64_dpp v5, v1, v2 row_shr:1 row_mask:0xf bank_mask:0xf ; encoding: [0x05,0x00,0x20,0xd7,0xfa,0x04,0x02,0x00,0x01,0x11,0x01,0xff]

v_mbcnt_hi_u32_b32_e64_dpp v5, v1, v2 row_shr:15
// GFX11: v_mbcnt_hi_u32_b32_e64_dpp v5, v1, v2 row_shr:15 row_mask:0xf bank_mask:0xf ; encoding: [0x05,0x00,0x20,0xd7,0xfa,0x04,0x02,0x00,0x01,0x1f,0x01,0xff]

v_mbcnt_hi_u32_b32_e64_dpp v5, v1, v2 row_xmask:0
// GFX11: v_mbcnt_hi_u32_b32_e64_dpp v5, v1, v2 row_xmask:0 row_mask:0xf bank_mask:0xf ; encoding: [0x05,0x00,0x20,0xd7,0xfa,0x04,0x02,0x00,0x01,0x60,0x01,0xff]

v_mbcnt_hi_u32_b32_e64_dpp v5, v1, v2 row_xmask:15
// GFX11: v_mbcnt_hi_u32_b32_e64_dpp v5, v1, v2 row_xmask:15 row_mask:0xf bank_mask:0xf ; encoding: [0x05,0x00,0x20,0xd7,0xfa,0x04,0x02,0x00,0x01,0x6f,0x01,0xff]

v_mbcnt_hi_u32_b32_e64_dpp v5, v1, v2 quad_perm:[3,2,1,0] fi:0
// GFX11: v_mbcnt_hi_u32_b32_e64_dpp v5, v1, v2 quad_perm:[3,2,1,0] row_mask:0xf bank_mask:0xf ; encoding: [0x05,0x00,0x20,0xd7,0xfa,0x04,0x02,0x00,0x01,0x1b,0x00,0xff]

v_mbcnt_hi_u32_b32_e64_dpp v5, v1, v2 quad_perm:[3,2,1,0] fi:1
// GFX11: v_mbcnt_hi_u32_b32_e64_dpp v5, v1, v2 quad_perm:[3,2,1,0] row_mask:0xf bank_mask:0xf fi:1 ; encoding: [0x05,0x00,0x20,0xd7,0xfa,0x04,0x02,0x00,0x01,0x1b,0x04,0xff]

v_mbcnt_hi_u32_b32_e64_dpp v5, v1, v2 quad_perm:[3,2,1,0] row_mask:0x0 bank_mask:0x1
// GFX11: v_mbcnt_hi_u32_b32_e64_dpp v5, v1, v2 quad_perm:[3,2,1,0] row_mask:0x0 bank_mask:0x1 ; encoding: [0x05,0x00,0x20,0xd7,0xfa,0x04,0x02,0x00,0x01,0x1b,0x00,0x01]

v_mbcnt_hi_u32_b32_e64_dpp v5, v1, v2 quad_perm:[3,2,1,0] row_mask:0x3 bank_mask:0x0
// GFX11: v_mbcnt_hi_u32_b32_e64_dpp v5, v1, v2 quad_perm:[3,2,1,0] row_mask:0x3 bank_mask:0x0 ; encoding: [0x05,0x00,0x20,0xd7,0xfa,0x04,0x02,0x00,0x01,0x1b,0x00,0x30]
	;; [unrolled: 3-line block ×3, first 2 shown]

v_mbcnt_lo_u32_b32_e64_dpp v5, v1, v2 quad_perm:[3,2,1,0]
// GFX11: v_mbcnt_lo_u32_b32_e64_dpp v5, v1, v2 quad_perm:[3,2,1,0] row_mask:0xf bank_mask:0xf ; encoding: [0x05,0x00,0x1f,0xd7,0xfa,0x04,0x02,0x00,0x01,0x1b,0x00,0xff]

v_mbcnt_lo_u32_b32_e64_dpp v255, v255, v255 quad_perm:[3,2,1,0]
// GFX11: v_mbcnt_lo_u32_b32_e64_dpp v255, v255, v255 quad_perm:[3,2,1,0] row_mask:0xf bank_mask:0xf ; encoding: [0xff,0x00,0x1f,0xd7,0xfa,0xfe,0x03,0x00,0xff,0x1b,0x00,0xff]

v_mbcnt_lo_u32_b32_e64_dpp v5, v1, v2 quad_perm:[3,2,1,0] bound_ctrl:0
// GFX11: v_mbcnt_lo_u32_b32_e64_dpp v5, v1, v2 quad_perm:[3,2,1,0] row_mask:0xf bank_mask:0xf ; encoding: [0x05,0x00,0x1f,0xd7,0xfa,0x04,0x02,0x00,0x01,0x1b,0x00,0xff]

v_mbcnt_lo_u32_b32_e64_dpp v5, v1, v2 quad_perm:[3,2,1,0] bound_ctrl:1
// GFX11: v_mbcnt_lo_u32_b32_e64_dpp v5, v1, v2 quad_perm:[3,2,1,0] row_mask:0xf bank_mask:0xf bound_ctrl:1 ; encoding: [0x05,0x00,0x1f,0xd7,0xfa,0x04,0x02,0x00,0x01,0x1b,0x08,0xff]

v_mbcnt_lo_u32_b32_e64_dpp v5, v1, v2 quad_perm:[0,1,2,3]
// GFX11: v_mbcnt_lo_u32_b32_e64_dpp v5, v1, v2 quad_perm:[0,1,2,3] row_mask:0xf bank_mask:0xf ; encoding: [0x05,0x00,0x1f,0xd7,0xfa,0x04,0x02,0x00,0x01,0xe4,0x00,0xff]

v_mbcnt_lo_u32_b32_e64_dpp v5, v1, v2 row_half_mirror
// GFX11: v_mbcnt_lo_u32_b32_e64_dpp v5, v1, v2 row_half_mirror row_mask:0xf bank_mask:0xf ; encoding: [0x05,0x00,0x1f,0xd7,0xfa,0x04,0x02,0x00,0x01,0x41,0x01,0xff]

v_mbcnt_lo_u32_b32_e64_dpp v5, v1, v2 row_mirror
// GFX11: v_mbcnt_lo_u32_b32_e64_dpp v5, v1, v2 row_mirror row_mask:0xf bank_mask:0xf ; encoding: [0x05,0x00,0x1f,0xd7,0xfa,0x04,0x02,0x00,0x01,0x40,0x01,0xff]

v_mbcnt_lo_u32_b32_e64_dpp v5, v1, v2 row_ror:1
// GFX11: v_mbcnt_lo_u32_b32_e64_dpp v5, v1, v2 row_ror:1 row_mask:0xf bank_mask:0xf ; encoding: [0x05,0x00,0x1f,0xd7,0xfa,0x04,0x02,0x00,0x01,0x21,0x01,0xff]

v_mbcnt_lo_u32_b32_e64_dpp v5, v1, v2 row_ror:15
// GFX11: v_mbcnt_lo_u32_b32_e64_dpp v5, v1, v2 row_ror:15 row_mask:0xf bank_mask:0xf ; encoding: [0x05,0x00,0x1f,0xd7,0xfa,0x04,0x02,0x00,0x01,0x2f,0x01,0xff]

v_mbcnt_lo_u32_b32_e64_dpp v5, v1, v2 row_share:0
// GFX11: v_mbcnt_lo_u32_b32_e64_dpp v5, v1, v2 row_share:0 row_mask:0xf bank_mask:0xf ; encoding: [0x05,0x00,0x1f,0xd7,0xfa,0x04,0x02,0x00,0x01,0x50,0x01,0xff]

v_mbcnt_lo_u32_b32_e64_dpp v5, v1, v2 row_share:15
// GFX11: v_mbcnt_lo_u32_b32_e64_dpp v5, v1, v2 row_share:15 row_mask:0xf bank_mask:0xf ; encoding: [0x05,0x00,0x1f,0xd7,0xfa,0x04,0x02,0x00,0x01,0x5f,0x01,0xff]

v_mbcnt_lo_u32_b32_e64_dpp v5, v1, v2 row_shl:1
// GFX11: v_mbcnt_lo_u32_b32_e64_dpp v5, v1, v2 row_shl:1 row_mask:0xf bank_mask:0xf ; encoding: [0x05,0x00,0x1f,0xd7,0xfa,0x04,0x02,0x00,0x01,0x01,0x01,0xff]

v_mbcnt_lo_u32_b32_e64_dpp v5, v1, v2 row_shl:15
// GFX11: v_mbcnt_lo_u32_b32_e64_dpp v5, v1, v2 row_shl:15 row_mask:0xf bank_mask:0xf ; encoding: [0x05,0x00,0x1f,0xd7,0xfa,0x04,0x02,0x00,0x01,0x0f,0x01,0xff]

v_mbcnt_lo_u32_b32_e64_dpp v5, v1, v2 row_shr:1
// GFX11: v_mbcnt_lo_u32_b32_e64_dpp v5, v1, v2 row_shr:1 row_mask:0xf bank_mask:0xf ; encoding: [0x05,0x00,0x1f,0xd7,0xfa,0x04,0x02,0x00,0x01,0x11,0x01,0xff]

v_mbcnt_lo_u32_b32_e64_dpp v5, v1, v2 row_shr:15
// GFX11: v_mbcnt_lo_u32_b32_e64_dpp v5, v1, v2 row_shr:15 row_mask:0xf bank_mask:0xf ; encoding: [0x05,0x00,0x1f,0xd7,0xfa,0x04,0x02,0x00,0x01,0x1f,0x01,0xff]

v_mbcnt_lo_u32_b32_e64_dpp v5, v1, v2 row_xmask:0
// GFX11: v_mbcnt_lo_u32_b32_e64_dpp v5, v1, v2 row_xmask:0 row_mask:0xf bank_mask:0xf ; encoding: [0x05,0x00,0x1f,0xd7,0xfa,0x04,0x02,0x00,0x01,0x60,0x01,0xff]

v_mbcnt_lo_u32_b32_e64_dpp v5, v1, v2 row_xmask:15
// GFX11: v_mbcnt_lo_u32_b32_e64_dpp v5, v1, v2 row_xmask:15 row_mask:0xf bank_mask:0xf ; encoding: [0x05,0x00,0x1f,0xd7,0xfa,0x04,0x02,0x00,0x01,0x6f,0x01,0xff]

v_mbcnt_lo_u32_b32_e64_dpp v5, v1, v2 quad_perm:[3,2,1,0] fi:0
// GFX11: v_mbcnt_lo_u32_b32_e64_dpp v5, v1, v2 quad_perm:[3,2,1,0] row_mask:0xf bank_mask:0xf ; encoding: [0x05,0x00,0x1f,0xd7,0xfa,0x04,0x02,0x00,0x01,0x1b,0x00,0xff]

v_mbcnt_lo_u32_b32_e64_dpp v5, v1, v2 quad_perm:[3,2,1,0] fi:1
// GFX11: v_mbcnt_lo_u32_b32_e64_dpp v5, v1, v2 quad_perm:[3,2,1,0] row_mask:0xf bank_mask:0xf fi:1 ; encoding: [0x05,0x00,0x1f,0xd7,0xfa,0x04,0x02,0x00,0x01,0x1b,0x04,0xff]

v_mbcnt_lo_u32_b32_e64_dpp v5, v1, v2 quad_perm:[3,2,1,0] row_mask:0x0 bank_mask:0x1
// GFX11: v_mbcnt_lo_u32_b32_e64_dpp v5, v1, v2 quad_perm:[3,2,1,0] row_mask:0x0 bank_mask:0x1 ; encoding: [0x05,0x00,0x1f,0xd7,0xfa,0x04,0x02,0x00,0x01,0x1b,0x00,0x01]

v_mbcnt_lo_u32_b32_e64_dpp v5, v1, v2 quad_perm:[3,2,1,0] row_mask:0x3 bank_mask:0x0
// GFX11: v_mbcnt_lo_u32_b32_e64_dpp v5, v1, v2 quad_perm:[3,2,1,0] row_mask:0x3 bank_mask:0x0 ; encoding: [0x05,0x00,0x1f,0xd7,0xfa,0x04,0x02,0x00,0x01,0x1b,0x00,0x30]
	;; [unrolled: 3-line block ×3, first 2 shown]

v_med3_f16_e64_dpp v5.l, v1.l, v2.l, v3.l quad_perm:[3,2,1,0]
// GFX11: v_med3_f16_e64_dpp v5.l, v1.l, v2.l, v3.l quad_perm:[3,2,1,0] row_mask:0xf bank_mask:0xf ; encoding: [0x05,0x00,0x4f,0xd6,0xfa,0x04,0x0e,0x04,0x01,0x1b,0x00,0xff]

v_med3_f16_e64_dpp v255.l, v255.l, v255.l, v255.l quad_perm:[3,2,1,0]
// GFX11: v_med3_f16_e64_dpp v255.l, v255.l, v255.l, v255.l quad_perm:[3,2,1,0] row_mask:0xf bank_mask:0xf ; encoding: [0xff,0x00,0x4f,0xd6,0xfa,0xfe,0xff,0x07,0xff,0x1b,0x00,0xff]

v_med3_f16_e64_dpp v5.l, -v7.l, v2.l, v3.l quad_perm:[3,2,1,0]
// GFX11: v_med3_f16_e64_dpp v5.l, -v7.l, v2.l, v3.l quad_perm:[3,2,1,0] row_mask:0xf bank_mask:0xf ; encoding: [0x05,0x00,0x4f,0xd6,0xfa,0x04,0x0e,0x24,0x07,0x1b,0x00,0xff]

v_med3_f16_e64_dpp v5.l, |v7.l|, v2.l, v3.l quad_perm:[3,2,1,0]
// GFX11: v_med3_f16_e64_dpp v5.l, |v7.l|, v2.l, v3.l quad_perm:[3,2,1,0] row_mask:0xf bank_mask:0xf ; encoding: [0x05,0x01,0x4f,0xd6,0xfa,0x04,0x0e,0x04,0x07,0x1b,0x00,0xff]

v_med3_f16_e64_dpp v5.l, -|v7.l|, v2.l, v3.l quad_perm:[3,2,1,0]
// GFX11: v_med3_f16_e64_dpp v5.l, -|v7.l|, v2.l, v3.l quad_perm:[3,2,1,0] row_mask:0xf bank_mask:0xf ; encoding: [0x05,0x01,0x4f,0xd6,0xfa,0x04,0x0e,0x24,0x07,0x1b,0x00,0xff]

v_med3_f16_e64_dpp v5.l, v1.l, -v7.l, v3.l quad_perm:[3,2,1,0]
// GFX11: v_med3_f16_e64_dpp v5.l, v1.l, -v7.l, v3.l quad_perm:[3,2,1,0] row_mask:0xf bank_mask:0xf ; encoding: [0x05,0x00,0x4f,0xd6,0xfa,0x0e,0x0e,0x44,0x01,0x1b,0x00,0xff]

v_med3_f16_e64_dpp v5.l, v1.l, |v7.l|, v3.l quad_perm:[3,2,1,0]
// GFX11: v_med3_f16_e64_dpp v5.l, v1.l, |v7.l|, v3.l quad_perm:[3,2,1,0] row_mask:0xf bank_mask:0xf ; encoding: [0x05,0x02,0x4f,0xd6,0xfa,0x0e,0x0e,0x04,0x01,0x1b,0x00,0xff]

v_med3_f16_e64_dpp v5.l, v1.l, -|v7.l|, v3.l quad_perm:[3,2,1,0]
// GFX11: v_med3_f16_e64_dpp v5.l, v1.l, -|v7.l|, v3.l quad_perm:[3,2,1,0] row_mask:0xf bank_mask:0xf ; encoding: [0x05,0x02,0x4f,0xd6,0xfa,0x0e,0x0e,0x44,0x01,0x1b,0x00,0xff]

v_med3_f16_e64_dpp v5.l, v1.l, v2.l, -1 quad_perm:[3,2,1,0]
// GFX11: v_med3_f16_e64_dpp v5.l, v1.l, v2.l, -1 quad_perm:[3,2,1,0] row_mask:0xf bank_mask:0xf ; encoding: [0x05,0x00,0x4f,0xd6,0xfa,0x04,0x06,0x03,0x01,0x1b,0x00,0xff]

v_med3_f16_e64_dpp v5.l, v1.l, v2.l, 0.5 quad_perm:[3,2,1,0]
// GFX11: v_med3_f16_e64_dpp v5.l, v1.l, v2.l, 0.5 quad_perm:[3,2,1,0] row_mask:0xf bank_mask:0xf ; encoding: [0x05,0x00,0x4f,0xd6,0xfa,0x04,0xc2,0x03,0x01,0x1b,0x00,0xff]

v_med3_f16_e64_dpp v5.l, v1.l, v2.l, exec_hi quad_perm:[3,2,1,0]
// GFX11: v_med3_f16_e64_dpp v5.l, v1.l, v2.l, exec_hi quad_perm:[3,2,1,0] row_mask:0xf bank_mask:0xf ; encoding: [0x05,0x00,0x4f,0xd6,0xfa,0x04,0xfe,0x01,0x01,0x1b,0x00,0xff]

v_med3_f16_e64_dpp v5.l, v1.l, v2.l, exec_lo quad_perm:[3,2,1,0]
// GFX11: v_med3_f16_e64_dpp v5.l, v1.l, v2.l, exec_lo quad_perm:[3,2,1,0] row_mask:0xf bank_mask:0xf ; encoding: [0x05,0x00,0x4f,0xd6,0xfa,0x04,0xfa,0x01,0x01,0x1b,0x00,0xff]

v_med3_f16_e64_dpp v5.l, v1.l, v2.l, m0 quad_perm:[3,2,1,0]
// GFX11: v_med3_f16_e64_dpp v5.l, v1.l, v2.l, m0 quad_perm:[3,2,1,0] row_mask:0xf bank_mask:0xf ; encoding: [0x05,0x00,0x4f,0xd6,0xfa,0x04,0xf6,0x01,0x01,0x1b,0x00,0xff]

v_med3_f16_e64_dpp v5.l, v1.l, v2.l, null quad_perm:[3,2,1,0]
// GFX11: v_med3_f16_e64_dpp v5.l, v1.l, v2.l, null quad_perm:[3,2,1,0] row_mask:0xf bank_mask:0xf ; encoding: [0x05,0x00,0x4f,0xd6,0xfa,0x04,0xf2,0x01,0x01,0x1b,0x00,0xff]

v_med3_f16_e64_dpp v5.l, v1.l, v2.l, s105 quad_perm:[3,2,1,0]
// GFX11: v_med3_f16_e64_dpp v5.l, v1.l, v2.l, s105 quad_perm:[3,2,1,0] row_mask:0xf bank_mask:0xf ; encoding: [0x05,0x00,0x4f,0xd6,0xfa,0x04,0xa6,0x01,0x01,0x1b,0x00,0xff]

v_med3_f16_e64_dpp v5.l, v1.l, v2.l, s3 quad_perm:[3,2,1,0]
// GFX11: v_med3_f16_e64_dpp v5.l, v1.l, v2.l, s3 quad_perm:[3,2,1,0] row_mask:0xf bank_mask:0xf ; encoding: [0x05,0x00,0x4f,0xd6,0xfa,0x04,0x0e,0x00,0x01,0x1b,0x00,0xff]

v_med3_f16_e64_dpp v5.l, v1.l, v2.l, src_scc quad_perm:[3,2,1,0]
// GFX11: v_med3_f16_e64_dpp v5.l, v1.l, v2.l, src_scc quad_perm:[3,2,1,0] row_mask:0xf bank_mask:0xf ; encoding: [0x05,0x00,0x4f,0xd6,0xfa,0x04,0xf6,0x03,0x01,0x1b,0x00,0xff]

v_med3_f16_e64_dpp v5.l, v1.l, v2.l, ttmp15 quad_perm:[3,2,1,0]
// GFX11: v_med3_f16_e64_dpp v5.l, v1.l, v2.l, ttmp15 quad_perm:[3,2,1,0] row_mask:0xf bank_mask:0xf ; encoding: [0x05,0x00,0x4f,0xd6,0xfa,0x04,0xee,0x01,0x01,0x1b,0x00,0xff]

v_med3_f16_e64_dpp v5.l, v1.l, v2.l, v255.h quad_perm:[3,2,1,0]
// GFX11: v_med3_f16_e64_dpp v5.l, v1.l, v2.l, v255.h op_sel:[0,0,1,0] quad_perm:[3,2,1,0] row_mask:0xf bank_mask:0xf ; encoding: [0x05,0x20,0x4f,0xd6,0xfa,0x04,0xfe,0x07,0x01,0x1b,0x00,0xff]

v_med3_f16_e64_dpp v5.l, v1.l, v2.l, v255.l quad_perm:[3,2,1,0]
// GFX11: v_med3_f16_e64_dpp v5.l, v1.l, v2.l, v255.l quad_perm:[3,2,1,0] row_mask:0xf bank_mask:0xf ; encoding: [0x05,0x00,0x4f,0xd6,0xfa,0x04,0xfe,0x07,0x01,0x1b,0x00,0xff]

v_med3_f16_e64_dpp v5.l, v1.l, v2.l, v3.h quad_perm:[3,2,1,0]
// GFX11: v_med3_f16_e64_dpp v5.l, v1.l, v2.l, v3.h op_sel:[0,0,1,0] quad_perm:[3,2,1,0] row_mask:0xf bank_mask:0xf ; encoding: [0x05,0x20,0x4f,0xd6,0xfa,0x04,0x0e,0x04,0x01,0x1b,0x00,0xff]

v_med3_f16_e64_dpp v5.l, v1.l, v2.l, vcc_hi quad_perm:[3,2,1,0]
// GFX11: v_med3_f16_e64_dpp v5.l, v1.l, v2.l, vcc_hi quad_perm:[3,2,1,0] row_mask:0xf bank_mask:0xf ; encoding: [0x05,0x00,0x4f,0xd6,0xfa,0x04,0xae,0x01,0x01,0x1b,0x00,0xff]

v_med3_f16_e64_dpp v5.l, v1.l, v2.l, vcc_lo quad_perm:[3,2,1,0]
// GFX11: v_med3_f16_e64_dpp v5.l, v1.l, v2.l, vcc_lo quad_perm:[3,2,1,0] row_mask:0xf bank_mask:0xf ; encoding: [0x05,0x00,0x4f,0xd6,0xfa,0x04,0xaa,0x01,0x01,0x1b,0x00,0xff]

v_med3_f16_e64_dpp v5.l, v1.l, v2.l, -|0.5| quad_perm:[3,2,1,0]
// GFX11: v_med3_f16_e64_dpp v5.l, v1.l, v2.l, -|0.5| quad_perm:[3,2,1,0] row_mask:0xf bank_mask:0xf ; encoding: [0x05,0x04,0x4f,0xd6,0xfa,0x04,0xc2,0x83,0x01,0x1b,0x00,0xff]

v_med3_f16_e64_dpp v5.l, v1.h, v2.l, v3.l op_sel:[1,0,0,0] quad_perm:[3,2,1,0]
// GFX11: v_med3_f16_e64_dpp v5.l, v1.h, v2.l, v3.l op_sel:[1,0,0,0] quad_perm:[3,2,1,0] row_mask:0xf bank_mask:0xf ; encoding: [0x05,0x08,0x4f,0xd6,0xfa,0x04,0x0e,0x04,0x01,0x1b,0x00,0xff]

v_med3_f16_e64_dpp v5.l, v1.l, v2.h, v3.l op_sel:[0,1,0,0] quad_perm:[3,2,1,0]
// GFX11: v_med3_f16_e64_dpp v5.l, v1.l, v2.h, v3.l op_sel:[0,1,0,0] quad_perm:[3,2,1,0] row_mask:0xf bank_mask:0xf ; encoding: [0x05,0x10,0x4f,0xd6,0xfa,0x04,0x0e,0x04,0x01,0x1b,0x00,0xff]

v_med3_f16_e64_dpp v5.l, v1.l, v2.l, v3.h op_sel:[0,0,1,0] quad_perm:[3,2,1,0]
// GFX11: v_med3_f16_e64_dpp v5.l, v1.l, v2.l, v3.h op_sel:[0,0,1,0] quad_perm:[3,2,1,0] row_mask:0xf bank_mask:0xf ; encoding: [0x05,0x20,0x4f,0xd6,0xfa,0x04,0x0e,0x04,0x01,0x1b,0x00,0xff]

v_med3_f16_e64_dpp v5.l, v1.l, v2.l, v3.l quad_perm:[3,2,1,0] bound_ctrl:0
// GFX11: v_med3_f16_e64_dpp v5.l, v1.l, v2.l, v3.l quad_perm:[3,2,1,0] row_mask:0xf bank_mask:0xf ; encoding: [0x05,0x00,0x4f,0xd6,0xfa,0x04,0x0e,0x04,0x01,0x1b,0x00,0xff]

v_med3_f16_e64_dpp v5.l, v1.l, v2.l, v3.l quad_perm:[3,2,1,0] bound_ctrl:1
// GFX11: v_med3_f16_e64_dpp v5.l, v1.l, v2.l, v3.l quad_perm:[3,2,1,0] row_mask:0xf bank_mask:0xf bound_ctrl:1 ; encoding: [0x05,0x00,0x4f,0xd6,0xfa,0x04,0x0e,0x04,0x01,0x1b,0x08,0xff]

v_med3_f16_e64_dpp v5.l, v1.l, v2.l, v3.l quad_perm:[0,1,2,3]
// GFX11: v_med3_f16_e64_dpp v5.l, v1.l, v2.l, v3.l quad_perm:[0,1,2,3] row_mask:0xf bank_mask:0xf ; encoding: [0x05,0x00,0x4f,0xd6,0xfa,0x04,0x0e,0x04,0x01,0xe4,0x00,0xff]

v_med3_f16_e64_dpp v5.l, v1.l, v2.l, v3.l row_half_mirror
// GFX11: v_med3_f16_e64_dpp v5.l, v1.l, v2.l, v3.l row_half_mirror row_mask:0xf bank_mask:0xf ; encoding: [0x05,0x00,0x4f,0xd6,0xfa,0x04,0x0e,0x04,0x01,0x41,0x01,0xff]

v_med3_f16_e64_dpp v5.l, v1.l, v2.l, v3.l row_mirror
// GFX11: v_med3_f16_e64_dpp v5.l, v1.l, v2.l, v3.l row_mirror row_mask:0xf bank_mask:0xf ; encoding: [0x05,0x00,0x4f,0xd6,0xfa,0x04,0x0e,0x04,0x01,0x40,0x01,0xff]

v_med3_f16_e64_dpp v5.l, v1.l, v2.l, v3.l row_ror:1
// GFX11: v_med3_f16_e64_dpp v5.l, v1.l, v2.l, v3.l row_ror:1 row_mask:0xf bank_mask:0xf ; encoding: [0x05,0x00,0x4f,0xd6,0xfa,0x04,0x0e,0x04,0x01,0x21,0x01,0xff]

v_med3_f16_e64_dpp v5.l, v1.l, v2.l, v3.l row_ror:15
// GFX11: v_med3_f16_e64_dpp v5.l, v1.l, v2.l, v3.l row_ror:15 row_mask:0xf bank_mask:0xf ; encoding: [0x05,0x00,0x4f,0xd6,0xfa,0x04,0x0e,0x04,0x01,0x2f,0x01,0xff]

v_med3_f16_e64_dpp v5.l, v1.l, v2.l, v3.l row_share:0
// GFX11: v_med3_f16_e64_dpp v5.l, v1.l, v2.l, v3.l row_share:0 row_mask:0xf bank_mask:0xf ; encoding: [0x05,0x00,0x4f,0xd6,0xfa,0x04,0x0e,0x04,0x01,0x50,0x01,0xff]

v_med3_f16_e64_dpp v5.l, v1.l, v2.l, v3.l row_share:15
// GFX11: v_med3_f16_e64_dpp v5.l, v1.l, v2.l, v3.l row_share:15 row_mask:0xf bank_mask:0xf ; encoding: [0x05,0x00,0x4f,0xd6,0xfa,0x04,0x0e,0x04,0x01,0x5f,0x01,0xff]

v_med3_f16_e64_dpp v5.l, v1.l, v2.l, v3.l row_shl:1
// GFX11: v_med3_f16_e64_dpp v5.l, v1.l, v2.l, v3.l row_shl:1 row_mask:0xf bank_mask:0xf ; encoding: [0x05,0x00,0x4f,0xd6,0xfa,0x04,0x0e,0x04,0x01,0x01,0x01,0xff]

v_med3_f16_e64_dpp v5.l, v1.l, v2.l, v3.l row_shl:15
// GFX11: v_med3_f16_e64_dpp v5.l, v1.l, v2.l, v3.l row_shl:15 row_mask:0xf bank_mask:0xf ; encoding: [0x05,0x00,0x4f,0xd6,0xfa,0x04,0x0e,0x04,0x01,0x0f,0x01,0xff]

v_med3_f16_e64_dpp v5.l, v1.l, v2.l, v3.l row_shr:1
// GFX11: v_med3_f16_e64_dpp v5.l, v1.l, v2.l, v3.l row_shr:1 row_mask:0xf bank_mask:0xf ; encoding: [0x05,0x00,0x4f,0xd6,0xfa,0x04,0x0e,0x04,0x01,0x11,0x01,0xff]

v_med3_f16_e64_dpp v5.l, v1.l, v2.l, v3.l row_shr:15
// GFX11: v_med3_f16_e64_dpp v5.l, v1.l, v2.l, v3.l row_shr:15 row_mask:0xf bank_mask:0xf ; encoding: [0x05,0x00,0x4f,0xd6,0xfa,0x04,0x0e,0x04,0x01,0x1f,0x01,0xff]

v_med3_f16_e64_dpp v5.l, v1.l, v2.l, v3.l row_xmask:0
// GFX11: v_med3_f16_e64_dpp v5.l, v1.l, v2.l, v3.l row_xmask:0 row_mask:0xf bank_mask:0xf ; encoding: [0x05,0x00,0x4f,0xd6,0xfa,0x04,0x0e,0x04,0x01,0x60,0x01,0xff]

v_med3_f16_e64_dpp v5.l, v1.l, v2.l, v3.l row_xmask:15
// GFX11: v_med3_f16_e64_dpp v5.l, v1.l, v2.l, v3.l row_xmask:15 row_mask:0xf bank_mask:0xf ; encoding: [0x05,0x00,0x4f,0xd6,0xfa,0x04,0x0e,0x04,0x01,0x6f,0x01,0xff]

v_med3_f16_e64_dpp v5.l, v1.l, v2.l, v3.l quad_perm:[3,2,1,0] fi:0
// GFX11: v_med3_f16_e64_dpp v5.l, v1.l, v2.l, v3.l quad_perm:[3,2,1,0] row_mask:0xf bank_mask:0xf ; encoding: [0x05,0x00,0x4f,0xd6,0xfa,0x04,0x0e,0x04,0x01,0x1b,0x00,0xff]

v_med3_f16_e64_dpp v5.l, v1.l, v2.l, v3.l quad_perm:[3,2,1,0] fi:1
// GFX11: v_med3_f16_e64_dpp v5.l, v1.l, v2.l, v3.l quad_perm:[3,2,1,0] row_mask:0xf bank_mask:0xf fi:1 ; encoding: [0x05,0x00,0x4f,0xd6,0xfa,0x04,0x0e,0x04,0x01,0x1b,0x04,0xff]

v_med3_f16_e64_dpp v5.l, v1.l, v2.l, v3.l div:2 quad_perm:[3,2,1,0]
// GFX11: v_med3_f16_e64_dpp v5.l, v1.l, v2.l, v3.l div:2 quad_perm:[3,2,1,0] row_mask:0xf bank_mask:0xf ; encoding: [0x05,0x00,0x4f,0xd6,0xfa,0x04,0x0e,0x1c,0x01,0x1b,0x00,0xff]

v_med3_f16_e64_dpp v5.l, v1.l, v2.l, v3.l mul:2 quad_perm:[3,2,1,0]
// GFX11: v_med3_f16_e64_dpp v5.l, v1.l, v2.l, v3.l mul:2 quad_perm:[3,2,1,0] row_mask:0xf bank_mask:0xf ; encoding: [0x05,0x00,0x4f,0xd6,0xfa,0x04,0x0e,0x0c,0x01,0x1b,0x00,0xff]

v_med3_f16_e64_dpp v5.l, v1.l, v2.l, v3.l mul:4 quad_perm:[3,2,1,0]
// GFX11: v_med3_f16_e64_dpp v5.l, v1.l, v2.l, v3.l mul:4 quad_perm:[3,2,1,0] row_mask:0xf bank_mask:0xf ; encoding: [0x05,0x00,0x4f,0xd6,0xfa,0x04,0x0e,0x14,0x01,0x1b,0x00,0xff]

v_med3_f16_e64_dpp v5.l, v1.l, v2.l, v3.l quad_perm:[3,2,1,0] row_mask:0x0 bank_mask:0x1
// GFX11: v_med3_f16_e64_dpp v5.l, v1.l, v2.l, v3.l quad_perm:[3,2,1,0] row_mask:0x0 bank_mask:0x1 ; encoding: [0x05,0x00,0x4f,0xd6,0xfa,0x04,0x0e,0x04,0x01,0x1b,0x00,0x01]

v_med3_f16_e64_dpp v5.l, v1.l, v2.l, v3.l quad_perm:[3,2,1,0] row_mask:0x3 bank_mask:0x0
// GFX11: v_med3_f16_e64_dpp v5.l, v1.l, v2.l, v3.l quad_perm:[3,2,1,0] row_mask:0x3 bank_mask:0x0 ; encoding: [0x05,0x00,0x4f,0xd6,0xfa,0x04,0x0e,0x04,0x01,0x1b,0x00,0x30]
	;; [unrolled: 3-line block ×3, first 2 shown]

v_med3_f16_e64_dpp v5.l, v1.l, v2.l, v3.l clamp quad_perm:[3,2,1,0]
// GFX11: v_med3_f16_e64_dpp v5.l, v1.l, v2.l, v3.l clamp quad_perm:[3,2,1,0] row_mask:0xf bank_mask:0xf ; encoding: [0x05,0x80,0x4f,0xd6,0xfa,0x04,0x0e,0x04,0x01,0x1b,0x00,0xff]

v_med3_f32_e64_dpp v5, v1, v2, v3 quad_perm:[3,2,1,0]
// GFX11: v_med3_f32_e64_dpp v5, v1, v2, v3 quad_perm:[3,2,1,0] row_mask:0xf bank_mask:0xf ; encoding: [0x05,0x00,0x1f,0xd6,0xfa,0x04,0x0e,0x04,0x01,0x1b,0x00,0xff]

v_med3_f32_e64_dpp v255, v255, v255, v255 quad_perm:[3,2,1,0]
// GFX11: v_med3_f32_e64_dpp v255, v255, v255, v255 quad_perm:[3,2,1,0] row_mask:0xf bank_mask:0xf ; encoding: [0xff,0x00,0x1f,0xd6,0xfa,0xfe,0xff,0x07,0xff,0x1b,0x00,0xff]

v_med3_f32_e64_dpp v5, -v7, v2, v3 quad_perm:[3,2,1,0]
// GFX11: v_med3_f32_e64_dpp v5, -v7, v2, v3 quad_perm:[3,2,1,0] row_mask:0xf bank_mask:0xf ; encoding: [0x05,0x00,0x1f,0xd6,0xfa,0x04,0x0e,0x24,0x07,0x1b,0x00,0xff]

v_med3_f32_e64_dpp v5, |v7|, v2, v3 quad_perm:[3,2,1,0]
// GFX11: v_med3_f32_e64_dpp v5, |v7|, v2, v3 quad_perm:[3,2,1,0] row_mask:0xf bank_mask:0xf ; encoding: [0x05,0x01,0x1f,0xd6,0xfa,0x04,0x0e,0x04,0x07,0x1b,0x00,0xff]

v_med3_f32_e64_dpp v5, -|v7|, v2, v3 quad_perm:[3,2,1,0]
// GFX11: v_med3_f32_e64_dpp v5, -|v7|, v2, v3 quad_perm:[3,2,1,0] row_mask:0xf bank_mask:0xf ; encoding: [0x05,0x01,0x1f,0xd6,0xfa,0x04,0x0e,0x24,0x07,0x1b,0x00,0xff]

v_med3_f32_e64_dpp v5, v1, -v7, v3 quad_perm:[3,2,1,0]
// GFX11: v_med3_f32_e64_dpp v5, v1, -v7, v3 quad_perm:[3,2,1,0] row_mask:0xf bank_mask:0xf ; encoding: [0x05,0x00,0x1f,0xd6,0xfa,0x0e,0x0e,0x44,0x01,0x1b,0x00,0xff]

v_med3_f32_e64_dpp v5, v1, |v7|, v3 quad_perm:[3,2,1,0]
// GFX11: v_med3_f32_e64_dpp v5, v1, |v7|, v3 quad_perm:[3,2,1,0] row_mask:0xf bank_mask:0xf ; encoding: [0x05,0x02,0x1f,0xd6,0xfa,0x0e,0x0e,0x04,0x01,0x1b,0x00,0xff]

v_med3_f32_e64_dpp v5, v1, -|v7|, v3 quad_perm:[3,2,1,0]
// GFX11: v_med3_f32_e64_dpp v5, v1, -|v7|, v3 quad_perm:[3,2,1,0] row_mask:0xf bank_mask:0xf ; encoding: [0x05,0x02,0x1f,0xd6,0xfa,0x0e,0x0e,0x44,0x01,0x1b,0x00,0xff]

v_med3_f32_e64_dpp v5, v1, v2, -1 quad_perm:[3,2,1,0]
// GFX11: v_med3_f32_e64_dpp v5, v1, v2, -1 quad_perm:[3,2,1,0] row_mask:0xf bank_mask:0xf ; encoding: [0x05,0x00,0x1f,0xd6,0xfa,0x04,0x06,0x03,0x01,0x1b,0x00,0xff]

v_med3_f32_e64_dpp v5, v1, v2, 0.5 quad_perm:[3,2,1,0]
// GFX11: v_med3_f32_e64_dpp v5, v1, v2, 0.5 quad_perm:[3,2,1,0] row_mask:0xf bank_mask:0xf ; encoding: [0x05,0x00,0x1f,0xd6,0xfa,0x04,0xc2,0x03,0x01,0x1b,0x00,0xff]

v_med3_f32_e64_dpp v5, v1, v2, exec_hi quad_perm:[3,2,1,0]
// GFX11: v_med3_f32_e64_dpp v5, v1, v2, exec_hi quad_perm:[3,2,1,0] row_mask:0xf bank_mask:0xf ; encoding: [0x05,0x00,0x1f,0xd6,0xfa,0x04,0xfe,0x01,0x01,0x1b,0x00,0xff]

v_med3_f32_e64_dpp v5, v1, v2, exec_lo quad_perm:[3,2,1,0]
// GFX11: v_med3_f32_e64_dpp v5, v1, v2, exec_lo quad_perm:[3,2,1,0] row_mask:0xf bank_mask:0xf ; encoding: [0x05,0x00,0x1f,0xd6,0xfa,0x04,0xfa,0x01,0x01,0x1b,0x00,0xff]

v_med3_f32_e64_dpp v5, v1, v2, m0 quad_perm:[3,2,1,0]
// GFX11: v_med3_f32_e64_dpp v5, v1, v2, m0 quad_perm:[3,2,1,0] row_mask:0xf bank_mask:0xf ; encoding: [0x05,0x00,0x1f,0xd6,0xfa,0x04,0xf6,0x01,0x01,0x1b,0x00,0xff]

v_med3_f32_e64_dpp v5, v1, v2, null quad_perm:[3,2,1,0]
// GFX11: v_med3_f32_e64_dpp v5, v1, v2, null quad_perm:[3,2,1,0] row_mask:0xf bank_mask:0xf ; encoding: [0x05,0x00,0x1f,0xd6,0xfa,0x04,0xf2,0x01,0x01,0x1b,0x00,0xff]

v_med3_f32_e64_dpp v5, v1, v2, s105 quad_perm:[3,2,1,0]
// GFX11: v_med3_f32_e64_dpp v5, v1, v2, s105 quad_perm:[3,2,1,0] row_mask:0xf bank_mask:0xf ; encoding: [0x05,0x00,0x1f,0xd6,0xfa,0x04,0xa6,0x01,0x01,0x1b,0x00,0xff]

v_med3_f32_e64_dpp v5, v1, v2, s3 quad_perm:[3,2,1,0]
// GFX11: v_med3_f32_e64_dpp v5, v1, v2, s3 quad_perm:[3,2,1,0] row_mask:0xf bank_mask:0xf ; encoding: [0x05,0x00,0x1f,0xd6,0xfa,0x04,0x0e,0x00,0x01,0x1b,0x00,0xff]

v_med3_f32_e64_dpp v5, v1, v2, src_scc quad_perm:[3,2,1,0]
// GFX11: v_med3_f32_e64_dpp v5, v1, v2, src_scc quad_perm:[3,2,1,0] row_mask:0xf bank_mask:0xf ; encoding: [0x05,0x00,0x1f,0xd6,0xfa,0x04,0xf6,0x03,0x01,0x1b,0x00,0xff]

v_med3_f32_e64_dpp v5, v1, v2, ttmp15 quad_perm:[3,2,1,0]
// GFX11: v_med3_f32_e64_dpp v5, v1, v2, ttmp15 quad_perm:[3,2,1,0] row_mask:0xf bank_mask:0xf ; encoding: [0x05,0x00,0x1f,0xd6,0xfa,0x04,0xee,0x01,0x01,0x1b,0x00,0xff]

v_med3_f32_e64_dpp v5, v1, v2, v255 quad_perm:[3,2,1,0]
// GFX11: v_med3_f32_e64_dpp v5, v1, v2, v255 quad_perm:[3,2,1,0] row_mask:0xf bank_mask:0xf ; encoding: [0x05,0x00,0x1f,0xd6,0xfa,0x04,0xfe,0x07,0x01,0x1b,0x00,0xff]

v_med3_f32_e64_dpp v5, v1, v2, vcc_hi quad_perm:[3,2,1,0]
// GFX11: v_med3_f32_e64_dpp v5, v1, v2, vcc_hi quad_perm:[3,2,1,0] row_mask:0xf bank_mask:0xf ; encoding: [0x05,0x00,0x1f,0xd6,0xfa,0x04,0xae,0x01,0x01,0x1b,0x00,0xff]

v_med3_f32_e64_dpp v5, v1, v2, vcc_lo quad_perm:[3,2,1,0]
// GFX11: v_med3_f32_e64_dpp v5, v1, v2, vcc_lo quad_perm:[3,2,1,0] row_mask:0xf bank_mask:0xf ; encoding: [0x05,0x00,0x1f,0xd6,0xfa,0x04,0xaa,0x01,0x01,0x1b,0x00,0xff]

v_med3_f32_e64_dpp v5, v1, v2, -|0.5| quad_perm:[3,2,1,0]
// GFX11: v_med3_f32_e64_dpp v5, v1, v2, -|0.5| quad_perm:[3,2,1,0] row_mask:0xf bank_mask:0xf ; encoding: [0x05,0x04,0x1f,0xd6,0xfa,0x04,0xc2,0x83,0x01,0x1b,0x00,0xff]

v_med3_f32_e64_dpp v5, v1, v2, v3 quad_perm:[3,2,1,0] bound_ctrl:0
// GFX11: v_med3_f32_e64_dpp v5, v1, v2, v3 quad_perm:[3,2,1,0] row_mask:0xf bank_mask:0xf ; encoding: [0x05,0x00,0x1f,0xd6,0xfa,0x04,0x0e,0x04,0x01,0x1b,0x00,0xff]

v_med3_f32_e64_dpp v5, v1, v2, v3 quad_perm:[3,2,1,0] bound_ctrl:1
// GFX11: v_med3_f32_e64_dpp v5, v1, v2, v3 quad_perm:[3,2,1,0] row_mask:0xf bank_mask:0xf bound_ctrl:1 ; encoding: [0x05,0x00,0x1f,0xd6,0xfa,0x04,0x0e,0x04,0x01,0x1b,0x08,0xff]

v_med3_f32_e64_dpp v5, v1, v2, v3 quad_perm:[0,1,2,3]
// GFX11: v_med3_f32_e64_dpp v5, v1, v2, v3 quad_perm:[0,1,2,3] row_mask:0xf bank_mask:0xf ; encoding: [0x05,0x00,0x1f,0xd6,0xfa,0x04,0x0e,0x04,0x01,0xe4,0x00,0xff]

v_med3_f32_e64_dpp v5, v1, v2, v3 row_half_mirror
// GFX11: v_med3_f32_e64_dpp v5, v1, v2, v3 row_half_mirror row_mask:0xf bank_mask:0xf ; encoding: [0x05,0x00,0x1f,0xd6,0xfa,0x04,0x0e,0x04,0x01,0x41,0x01,0xff]

v_med3_f32_e64_dpp v5, v1, v2, v3 row_mirror
// GFX11: v_med3_f32_e64_dpp v5, v1, v2, v3 row_mirror row_mask:0xf bank_mask:0xf ; encoding: [0x05,0x00,0x1f,0xd6,0xfa,0x04,0x0e,0x04,0x01,0x40,0x01,0xff]

v_med3_f32_e64_dpp v5, v1, v2, v3 row_ror:1
// GFX11: v_med3_f32_e64_dpp v5, v1, v2, v3 row_ror:1 row_mask:0xf bank_mask:0xf ; encoding: [0x05,0x00,0x1f,0xd6,0xfa,0x04,0x0e,0x04,0x01,0x21,0x01,0xff]

v_med3_f32_e64_dpp v5, v1, v2, v3 row_ror:15
// GFX11: v_med3_f32_e64_dpp v5, v1, v2, v3 row_ror:15 row_mask:0xf bank_mask:0xf ; encoding: [0x05,0x00,0x1f,0xd6,0xfa,0x04,0x0e,0x04,0x01,0x2f,0x01,0xff]

v_med3_f32_e64_dpp v5, v1, v2, v3 row_share:0
// GFX11: v_med3_f32_e64_dpp v5, v1, v2, v3 row_share:0 row_mask:0xf bank_mask:0xf ; encoding: [0x05,0x00,0x1f,0xd6,0xfa,0x04,0x0e,0x04,0x01,0x50,0x01,0xff]

v_med3_f32_e64_dpp v5, v1, v2, v3 row_share:15
// GFX11: v_med3_f32_e64_dpp v5, v1, v2, v3 row_share:15 row_mask:0xf bank_mask:0xf ; encoding: [0x05,0x00,0x1f,0xd6,0xfa,0x04,0x0e,0x04,0x01,0x5f,0x01,0xff]

v_med3_f32_e64_dpp v5, v1, v2, v3 row_shl:1
// GFX11: v_med3_f32_e64_dpp v5, v1, v2, v3 row_shl:1 row_mask:0xf bank_mask:0xf ; encoding: [0x05,0x00,0x1f,0xd6,0xfa,0x04,0x0e,0x04,0x01,0x01,0x01,0xff]

v_med3_f32_e64_dpp v5, v1, v2, v3 row_shl:15
// GFX11: v_med3_f32_e64_dpp v5, v1, v2, v3 row_shl:15 row_mask:0xf bank_mask:0xf ; encoding: [0x05,0x00,0x1f,0xd6,0xfa,0x04,0x0e,0x04,0x01,0x0f,0x01,0xff]

v_med3_f32_e64_dpp v5, v1, v2, v3 row_shr:1
// GFX11: v_med3_f32_e64_dpp v5, v1, v2, v3 row_shr:1 row_mask:0xf bank_mask:0xf ; encoding: [0x05,0x00,0x1f,0xd6,0xfa,0x04,0x0e,0x04,0x01,0x11,0x01,0xff]

v_med3_f32_e64_dpp v5, v1, v2, v3 row_shr:15
// GFX11: v_med3_f32_e64_dpp v5, v1, v2, v3 row_shr:15 row_mask:0xf bank_mask:0xf ; encoding: [0x05,0x00,0x1f,0xd6,0xfa,0x04,0x0e,0x04,0x01,0x1f,0x01,0xff]

v_med3_f32_e64_dpp v5, v1, v2, v3 row_xmask:0
// GFX11: v_med3_f32_e64_dpp v5, v1, v2, v3 row_xmask:0 row_mask:0xf bank_mask:0xf ; encoding: [0x05,0x00,0x1f,0xd6,0xfa,0x04,0x0e,0x04,0x01,0x60,0x01,0xff]

v_med3_f32_e64_dpp v5, v1, v2, v3 row_xmask:15
// GFX11: v_med3_f32_e64_dpp v5, v1, v2, v3 row_xmask:15 row_mask:0xf bank_mask:0xf ; encoding: [0x05,0x00,0x1f,0xd6,0xfa,0x04,0x0e,0x04,0x01,0x6f,0x01,0xff]

v_med3_f32_e64_dpp v5, v1, v2, v3 quad_perm:[3,2,1,0] fi:0
// GFX11: v_med3_f32_e64_dpp v5, v1, v2, v3 quad_perm:[3,2,1,0] row_mask:0xf bank_mask:0xf ; encoding: [0x05,0x00,0x1f,0xd6,0xfa,0x04,0x0e,0x04,0x01,0x1b,0x00,0xff]

v_med3_f32_e64_dpp v5, v1, v2, v3 quad_perm:[3,2,1,0] fi:1
// GFX11: v_med3_f32_e64_dpp v5, v1, v2, v3 quad_perm:[3,2,1,0] row_mask:0xf bank_mask:0xf fi:1 ; encoding: [0x05,0x00,0x1f,0xd6,0xfa,0x04,0x0e,0x04,0x01,0x1b,0x04,0xff]

v_med3_f32_e64_dpp v5, v1, v2, v3 div:2 quad_perm:[3,2,1,0]
// GFX11: v_med3_f32_e64_dpp v5, v1, v2, v3 div:2 quad_perm:[3,2,1,0] row_mask:0xf bank_mask:0xf ; encoding: [0x05,0x00,0x1f,0xd6,0xfa,0x04,0x0e,0x1c,0x01,0x1b,0x00,0xff]

v_med3_f32_e64_dpp v5, v1, v2, v3 mul:2 quad_perm:[3,2,1,0]
// GFX11: v_med3_f32_e64_dpp v5, v1, v2, v3 mul:2 quad_perm:[3,2,1,0] row_mask:0xf bank_mask:0xf ; encoding: [0x05,0x00,0x1f,0xd6,0xfa,0x04,0x0e,0x0c,0x01,0x1b,0x00,0xff]

v_med3_f32_e64_dpp v5, v1, v2, v3 mul:4 quad_perm:[3,2,1,0]
// GFX11: v_med3_f32_e64_dpp v5, v1, v2, v3 mul:4 quad_perm:[3,2,1,0] row_mask:0xf bank_mask:0xf ; encoding: [0x05,0x00,0x1f,0xd6,0xfa,0x04,0x0e,0x14,0x01,0x1b,0x00,0xff]

v_med3_f32_e64_dpp v5, v1, v2, v3 quad_perm:[3,2,1,0] row_mask:0x0 bank_mask:0x1
// GFX11: v_med3_f32_e64_dpp v5, v1, v2, v3 quad_perm:[3,2,1,0] row_mask:0x0 bank_mask:0x1 ; encoding: [0x05,0x00,0x1f,0xd6,0xfa,0x04,0x0e,0x04,0x01,0x1b,0x00,0x01]

v_med3_f32_e64_dpp v5, v1, v2, v3 quad_perm:[3,2,1,0] row_mask:0x3 bank_mask:0x0
// GFX11: v_med3_f32_e64_dpp v5, v1, v2, v3 quad_perm:[3,2,1,0] row_mask:0x3 bank_mask:0x0 ; encoding: [0x05,0x00,0x1f,0xd6,0xfa,0x04,0x0e,0x04,0x01,0x1b,0x00,0x30]
	;; [unrolled: 3-line block ×3, first 2 shown]

v_med3_f32_e64_dpp v5, v1, v2, v3 clamp quad_perm:[3,2,1,0]
// GFX11: v_med3_f32_e64_dpp v5, v1, v2, v3 clamp quad_perm:[3,2,1,0] row_mask:0xf bank_mask:0xf ; encoding: [0x05,0x80,0x1f,0xd6,0xfa,0x04,0x0e,0x04,0x01,0x1b,0x00,0xff]

v_med3_i16_e64_dpp v5.l, v1.l, v2.l, v3.l quad_perm:[3,2,1,0]
// GFX11: v_med3_i16_e64_dpp v5.l, v1.l, v2.l, v3.l quad_perm:[3,2,1,0] row_mask:0xf bank_mask:0xf ; encoding: [0x05,0x00,0x50,0xd6,0xfa,0x04,0x0e,0x04,0x01,0x1b,0x00,0xff]

v_med3_i16_e64_dpp v255.l, v255.l, v255.l, v255.l quad_perm:[3,2,1,0]
// GFX11: v_med3_i16_e64_dpp v255.l, v255.l, v255.l, v255.l quad_perm:[3,2,1,0] row_mask:0xf bank_mask:0xf ; encoding: [0xff,0x00,0x50,0xd6,0xfa,0xfe,0xff,0x07,0xff,0x1b,0x00,0xff]

v_med3_i16_e64_dpp v5.l, v1.l, v2.l, -1 quad_perm:[3,2,1,0]
// GFX11: v_med3_i16_e64_dpp v5.l, v1.l, v2.l, -1 quad_perm:[3,2,1,0] row_mask:0xf bank_mask:0xf ; encoding: [0x05,0x00,0x50,0xd6,0xfa,0x04,0x06,0x03,0x01,0x1b,0x00,0xff]

v_med3_i16_e64_dpp v5.l, v1.l, v2.l, 0.5 quad_perm:[3,2,1,0]
// GFX11: v_med3_i16_e64_dpp v5.l, v1.l, v2.l, 0.5 quad_perm:[3,2,1,0] row_mask:0xf bank_mask:0xf ; encoding: [0x05,0x00,0x50,0xd6,0xfa,0x04,0xc2,0x03,0x01,0x1b,0x00,0xff]

v_med3_i16_e64_dpp v5.l, v1.l, v2.l, exec_hi quad_perm:[3,2,1,0]
// GFX11: v_med3_i16_e64_dpp v5.l, v1.l, v2.l, exec_hi quad_perm:[3,2,1,0] row_mask:0xf bank_mask:0xf ; encoding: [0x05,0x00,0x50,0xd6,0xfa,0x04,0xfe,0x01,0x01,0x1b,0x00,0xff]

v_med3_i16_e64_dpp v5.l, v1.l, v2.l, exec_lo quad_perm:[3,2,1,0]
// GFX11: v_med3_i16_e64_dpp v5.l, v1.l, v2.l, exec_lo quad_perm:[3,2,1,0] row_mask:0xf bank_mask:0xf ; encoding: [0x05,0x00,0x50,0xd6,0xfa,0x04,0xfa,0x01,0x01,0x1b,0x00,0xff]

v_med3_i16_e64_dpp v5.l, v1.l, v2.l, m0 quad_perm:[3,2,1,0]
// GFX11: v_med3_i16_e64_dpp v5.l, v1.l, v2.l, m0 quad_perm:[3,2,1,0] row_mask:0xf bank_mask:0xf ; encoding: [0x05,0x00,0x50,0xd6,0xfa,0x04,0xf6,0x01,0x01,0x1b,0x00,0xff]

v_med3_i16_e64_dpp v5.l, v1.l, v2.l, null quad_perm:[3,2,1,0]
// GFX11: v_med3_i16_e64_dpp v5.l, v1.l, v2.l, null quad_perm:[3,2,1,0] row_mask:0xf bank_mask:0xf ; encoding: [0x05,0x00,0x50,0xd6,0xfa,0x04,0xf2,0x01,0x01,0x1b,0x00,0xff]

v_med3_i16_e64_dpp v5.l, v1.l, v2.l, s105 quad_perm:[3,2,1,0]
// GFX11: v_med3_i16_e64_dpp v5.l, v1.l, v2.l, s105 quad_perm:[3,2,1,0] row_mask:0xf bank_mask:0xf ; encoding: [0x05,0x00,0x50,0xd6,0xfa,0x04,0xa6,0x01,0x01,0x1b,0x00,0xff]

v_med3_i16_e64_dpp v5.l, v1.l, v2.l, s3 quad_perm:[3,2,1,0]
// GFX11: v_med3_i16_e64_dpp v5.l, v1.l, v2.l, s3 quad_perm:[3,2,1,0] row_mask:0xf bank_mask:0xf ; encoding: [0x05,0x00,0x50,0xd6,0xfa,0x04,0x0e,0x00,0x01,0x1b,0x00,0xff]

v_med3_i16_e64_dpp v5.l, v1.l, v2.l, src_scc quad_perm:[3,2,1,0]
// GFX11: v_med3_i16_e64_dpp v5.l, v1.l, v2.l, src_scc quad_perm:[3,2,1,0] row_mask:0xf bank_mask:0xf ; encoding: [0x05,0x00,0x50,0xd6,0xfa,0x04,0xf6,0x03,0x01,0x1b,0x00,0xff]

v_med3_i16_e64_dpp v5.l, v1.l, v2.l, ttmp15 quad_perm:[3,2,1,0]
// GFX11: v_med3_i16_e64_dpp v5.l, v1.l, v2.l, ttmp15 quad_perm:[3,2,1,0] row_mask:0xf bank_mask:0xf ; encoding: [0x05,0x00,0x50,0xd6,0xfa,0x04,0xee,0x01,0x01,0x1b,0x00,0xff]

v_med3_i16_e64_dpp v5.l, v1.l, v2.l, v255.h quad_perm:[3,2,1,0]
// GFX11: v_med3_i16_e64_dpp v5.l, v1.l, v2.l, v255.h op_sel:[0,0,1,0] quad_perm:[3,2,1,0] row_mask:0xf bank_mask:0xf ; encoding: [0x05,0x20,0x50,0xd6,0xfa,0x04,0xfe,0x07,0x01,0x1b,0x00,0xff]

v_med3_i16_e64_dpp v5.l, v1.l, v2.l, v255.l quad_perm:[3,2,1,0]
// GFX11: v_med3_i16_e64_dpp v5.l, v1.l, v2.l, v255.l quad_perm:[3,2,1,0] row_mask:0xf bank_mask:0xf ; encoding: [0x05,0x00,0x50,0xd6,0xfa,0x04,0xfe,0x07,0x01,0x1b,0x00,0xff]

v_med3_i16_e64_dpp v5.l, v1.l, v2.l, v3.h quad_perm:[3,2,1,0]
// GFX11: v_med3_i16_e64_dpp v5.l, v1.l, v2.l, v3.h op_sel:[0,0,1,0] quad_perm:[3,2,1,0] row_mask:0xf bank_mask:0xf ; encoding: [0x05,0x20,0x50,0xd6,0xfa,0x04,0x0e,0x04,0x01,0x1b,0x00,0xff]

v_med3_i16_e64_dpp v5.l, v1.l, v2.l, vcc_hi quad_perm:[3,2,1,0]
// GFX11: v_med3_i16_e64_dpp v5.l, v1.l, v2.l, vcc_hi quad_perm:[3,2,1,0] row_mask:0xf bank_mask:0xf ; encoding: [0x05,0x00,0x50,0xd6,0xfa,0x04,0xae,0x01,0x01,0x1b,0x00,0xff]

v_med3_i16_e64_dpp v5.l, v1.l, v2.l, vcc_lo quad_perm:[3,2,1,0]
// GFX11: v_med3_i16_e64_dpp v5.l, v1.l, v2.l, vcc_lo quad_perm:[3,2,1,0] row_mask:0xf bank_mask:0xf ; encoding: [0x05,0x00,0x50,0xd6,0xfa,0x04,0xaa,0x01,0x01,0x1b,0x00,0xff]

v_med3_i16_e64_dpp v5.l, v1.h, v2.l, v3.l op_sel:[1,0,0,0] quad_perm:[3,2,1,0]
// GFX11: v_med3_i16_e64_dpp v5.l, v1.h, v2.l, v3.l op_sel:[1,0,0,0] quad_perm:[3,2,1,0] row_mask:0xf bank_mask:0xf ; encoding: [0x05,0x08,0x50,0xd6,0xfa,0x04,0x0e,0x04,0x01,0x1b,0x00,0xff]

v_med3_i16_e64_dpp v5.l, v1.l, v2.h, v3.l op_sel:[0,1,0,0] quad_perm:[3,2,1,0]
// GFX11: v_med3_i16_e64_dpp v5.l, v1.l, v2.h, v3.l op_sel:[0,1,0,0] quad_perm:[3,2,1,0] row_mask:0xf bank_mask:0xf ; encoding: [0x05,0x10,0x50,0xd6,0xfa,0x04,0x0e,0x04,0x01,0x1b,0x00,0xff]

v_med3_i16_e64_dpp v5.l, v1.l, v2.l, v3.h op_sel:[0,0,1,0] quad_perm:[3,2,1,0]
// GFX11: v_med3_i16_e64_dpp v5.l, v1.l, v2.l, v3.h op_sel:[0,0,1,0] quad_perm:[3,2,1,0] row_mask:0xf bank_mask:0xf ; encoding: [0x05,0x20,0x50,0xd6,0xfa,0x04,0x0e,0x04,0x01,0x1b,0x00,0xff]

v_med3_i16_e64_dpp v5.l, v1.l, v2.l, v3.l quad_perm:[3,2,1,0] bound_ctrl:0
// GFX11: v_med3_i16_e64_dpp v5.l, v1.l, v2.l, v3.l quad_perm:[3,2,1,0] row_mask:0xf bank_mask:0xf ; encoding: [0x05,0x00,0x50,0xd6,0xfa,0x04,0x0e,0x04,0x01,0x1b,0x00,0xff]

v_med3_i16_e64_dpp v5.l, v1.l, v2.l, v3.l quad_perm:[3,2,1,0] bound_ctrl:1
// GFX11: v_med3_i16_e64_dpp v5.l, v1.l, v2.l, v3.l quad_perm:[3,2,1,0] row_mask:0xf bank_mask:0xf bound_ctrl:1 ; encoding: [0x05,0x00,0x50,0xd6,0xfa,0x04,0x0e,0x04,0x01,0x1b,0x08,0xff]

v_med3_i16_e64_dpp v5.l, v1.l, v2.l, v3.l quad_perm:[0,1,2,3]
// GFX11: v_med3_i16_e64_dpp v5.l, v1.l, v2.l, v3.l quad_perm:[0,1,2,3] row_mask:0xf bank_mask:0xf ; encoding: [0x05,0x00,0x50,0xd6,0xfa,0x04,0x0e,0x04,0x01,0xe4,0x00,0xff]

v_med3_i16_e64_dpp v5.l, v1.l, v2.l, v3.l row_half_mirror
// GFX11: v_med3_i16_e64_dpp v5.l, v1.l, v2.l, v3.l row_half_mirror row_mask:0xf bank_mask:0xf ; encoding: [0x05,0x00,0x50,0xd6,0xfa,0x04,0x0e,0x04,0x01,0x41,0x01,0xff]

v_med3_i16_e64_dpp v5.l, v1.l, v2.l, v3.l row_mirror
// GFX11: v_med3_i16_e64_dpp v5.l, v1.l, v2.l, v3.l row_mirror row_mask:0xf bank_mask:0xf ; encoding: [0x05,0x00,0x50,0xd6,0xfa,0x04,0x0e,0x04,0x01,0x40,0x01,0xff]

v_med3_i16_e64_dpp v5.l, v1.l, v2.l, v3.l row_ror:1
// GFX11: v_med3_i16_e64_dpp v5.l, v1.l, v2.l, v3.l row_ror:1 row_mask:0xf bank_mask:0xf ; encoding: [0x05,0x00,0x50,0xd6,0xfa,0x04,0x0e,0x04,0x01,0x21,0x01,0xff]

v_med3_i16_e64_dpp v5.l, v1.l, v2.l, v3.l row_ror:15
// GFX11: v_med3_i16_e64_dpp v5.l, v1.l, v2.l, v3.l row_ror:15 row_mask:0xf bank_mask:0xf ; encoding: [0x05,0x00,0x50,0xd6,0xfa,0x04,0x0e,0x04,0x01,0x2f,0x01,0xff]

v_med3_i16_e64_dpp v5.l, v1.l, v2.l, v3.l row_share:0
// GFX11: v_med3_i16_e64_dpp v5.l, v1.l, v2.l, v3.l row_share:0 row_mask:0xf bank_mask:0xf ; encoding: [0x05,0x00,0x50,0xd6,0xfa,0x04,0x0e,0x04,0x01,0x50,0x01,0xff]

v_med3_i16_e64_dpp v5.l, v1.l, v2.l, v3.l row_share:15
// GFX11: v_med3_i16_e64_dpp v5.l, v1.l, v2.l, v3.l row_share:15 row_mask:0xf bank_mask:0xf ; encoding: [0x05,0x00,0x50,0xd6,0xfa,0x04,0x0e,0x04,0x01,0x5f,0x01,0xff]

v_med3_i16_e64_dpp v5.l, v1.l, v2.l, v3.l row_shl:1
// GFX11: v_med3_i16_e64_dpp v5.l, v1.l, v2.l, v3.l row_shl:1 row_mask:0xf bank_mask:0xf ; encoding: [0x05,0x00,0x50,0xd6,0xfa,0x04,0x0e,0x04,0x01,0x01,0x01,0xff]

v_med3_i16_e64_dpp v5.l, v1.l, v2.l, v3.l row_shl:15
// GFX11: v_med3_i16_e64_dpp v5.l, v1.l, v2.l, v3.l row_shl:15 row_mask:0xf bank_mask:0xf ; encoding: [0x05,0x00,0x50,0xd6,0xfa,0x04,0x0e,0x04,0x01,0x0f,0x01,0xff]

v_med3_i16_e64_dpp v5.l, v1.l, v2.l, v3.l row_shr:1
// GFX11: v_med3_i16_e64_dpp v5.l, v1.l, v2.l, v3.l row_shr:1 row_mask:0xf bank_mask:0xf ; encoding: [0x05,0x00,0x50,0xd6,0xfa,0x04,0x0e,0x04,0x01,0x11,0x01,0xff]

v_med3_i16_e64_dpp v5.l, v1.l, v2.l, v3.l row_shr:15
// GFX11: v_med3_i16_e64_dpp v5.l, v1.l, v2.l, v3.l row_shr:15 row_mask:0xf bank_mask:0xf ; encoding: [0x05,0x00,0x50,0xd6,0xfa,0x04,0x0e,0x04,0x01,0x1f,0x01,0xff]

v_med3_i16_e64_dpp v5.l, v1.l, v2.l, v3.l row_xmask:0
// GFX11: v_med3_i16_e64_dpp v5.l, v1.l, v2.l, v3.l row_xmask:0 row_mask:0xf bank_mask:0xf ; encoding: [0x05,0x00,0x50,0xd6,0xfa,0x04,0x0e,0x04,0x01,0x60,0x01,0xff]

v_med3_i16_e64_dpp v5.l, v1.l, v2.l, v3.l row_xmask:15
// GFX11: v_med3_i16_e64_dpp v5.l, v1.l, v2.l, v3.l row_xmask:15 row_mask:0xf bank_mask:0xf ; encoding: [0x05,0x00,0x50,0xd6,0xfa,0x04,0x0e,0x04,0x01,0x6f,0x01,0xff]

v_med3_i16_e64_dpp v5.l, v1.l, v2.l, v3.l quad_perm:[3,2,1,0] fi:0
// GFX11: v_med3_i16_e64_dpp v5.l, v1.l, v2.l, v3.l quad_perm:[3,2,1,0] row_mask:0xf bank_mask:0xf ; encoding: [0x05,0x00,0x50,0xd6,0xfa,0x04,0x0e,0x04,0x01,0x1b,0x00,0xff]

v_med3_i16_e64_dpp v5.l, v1.l, v2.l, v3.l quad_perm:[3,2,1,0] fi:1
// GFX11: v_med3_i16_e64_dpp v5.l, v1.l, v2.l, v3.l quad_perm:[3,2,1,0] row_mask:0xf bank_mask:0xf fi:1 ; encoding: [0x05,0x00,0x50,0xd6,0xfa,0x04,0x0e,0x04,0x01,0x1b,0x04,0xff]

v_med3_i16_e64_dpp v5.l, v1.l, v2.l, v3.l quad_perm:[3,2,1,0] row_mask:0x0 bank_mask:0x1
// GFX11: v_med3_i16_e64_dpp v5.l, v1.l, v2.l, v3.l quad_perm:[3,2,1,0] row_mask:0x0 bank_mask:0x1 ; encoding: [0x05,0x00,0x50,0xd6,0xfa,0x04,0x0e,0x04,0x01,0x1b,0x00,0x01]

v_med3_i16_e64_dpp v5.l, v1.l, v2.l, v3.l quad_perm:[3,2,1,0] row_mask:0x3 bank_mask:0x0
// GFX11: v_med3_i16_e64_dpp v5.l, v1.l, v2.l, v3.l quad_perm:[3,2,1,0] row_mask:0x3 bank_mask:0x0 ; encoding: [0x05,0x00,0x50,0xd6,0xfa,0x04,0x0e,0x04,0x01,0x1b,0x00,0x30]

v_med3_i16_e64_dpp v5.l, v1.l, v2.l, v3.l quad_perm:[3,2,1,0] row_mask:0xf bank_mask:0xf
// GFX11: v_med3_i16_e64_dpp v5.l, v1.l, v2.l, v3.l quad_perm:[3,2,1,0] row_mask:0xf bank_mask:0xf ; encoding: [0x05,0x00,0x50,0xd6,0xfa,0x04,0x0e,0x04,0x01,0x1b,0x00,0xff]

v_med3_i32_e64_dpp v5, v1, v2, v3 quad_perm:[3,2,1,0]
// GFX11: v_med3_i32_e64_dpp v5, v1, v2, v3 quad_perm:[3,2,1,0] row_mask:0xf bank_mask:0xf ; encoding: [0x05,0x00,0x20,0xd6,0xfa,0x04,0x0e,0x04,0x01,0x1b,0x00,0xff]

v_med3_i32_e64_dpp v255, v255, v255, v255 quad_perm:[3,2,1,0]
// GFX11: v_med3_i32_e64_dpp v255, v255, v255, v255 quad_perm:[3,2,1,0] row_mask:0xf bank_mask:0xf ; encoding: [0xff,0x00,0x20,0xd6,0xfa,0xfe,0xff,0x07,0xff,0x1b,0x00,0xff]

v_med3_i32_e64_dpp v5, v1, v2, -1 quad_perm:[3,2,1,0]
// GFX11: v_med3_i32_e64_dpp v5, v1, v2, -1 quad_perm:[3,2,1,0] row_mask:0xf bank_mask:0xf ; encoding: [0x05,0x00,0x20,0xd6,0xfa,0x04,0x06,0x03,0x01,0x1b,0x00,0xff]

v_med3_i32_e64_dpp v5, v1, v2, 0.5 quad_perm:[3,2,1,0]
// GFX11: v_med3_i32_e64_dpp v5, v1, v2, 0.5 quad_perm:[3,2,1,0] row_mask:0xf bank_mask:0xf ; encoding: [0x05,0x00,0x20,0xd6,0xfa,0x04,0xc2,0x03,0x01,0x1b,0x00,0xff]

v_med3_i32_e64_dpp v5, v1, v2, exec_hi quad_perm:[3,2,1,0]
// GFX11: v_med3_i32_e64_dpp v5, v1, v2, exec_hi quad_perm:[3,2,1,0] row_mask:0xf bank_mask:0xf ; encoding: [0x05,0x00,0x20,0xd6,0xfa,0x04,0xfe,0x01,0x01,0x1b,0x00,0xff]

v_med3_i32_e64_dpp v5, v1, v2, exec_lo quad_perm:[3,2,1,0]
// GFX11: v_med3_i32_e64_dpp v5, v1, v2, exec_lo quad_perm:[3,2,1,0] row_mask:0xf bank_mask:0xf ; encoding: [0x05,0x00,0x20,0xd6,0xfa,0x04,0xfa,0x01,0x01,0x1b,0x00,0xff]

v_med3_i32_e64_dpp v5, v1, v2, m0 quad_perm:[3,2,1,0]
// GFX11: v_med3_i32_e64_dpp v5, v1, v2, m0 quad_perm:[3,2,1,0] row_mask:0xf bank_mask:0xf ; encoding: [0x05,0x00,0x20,0xd6,0xfa,0x04,0xf6,0x01,0x01,0x1b,0x00,0xff]

v_med3_i32_e64_dpp v5, v1, v2, null quad_perm:[3,2,1,0]
// GFX11: v_med3_i32_e64_dpp v5, v1, v2, null quad_perm:[3,2,1,0] row_mask:0xf bank_mask:0xf ; encoding: [0x05,0x00,0x20,0xd6,0xfa,0x04,0xf2,0x01,0x01,0x1b,0x00,0xff]

v_med3_i32_e64_dpp v5, v1, v2, s105 quad_perm:[3,2,1,0]
// GFX11: v_med3_i32_e64_dpp v5, v1, v2, s105 quad_perm:[3,2,1,0] row_mask:0xf bank_mask:0xf ; encoding: [0x05,0x00,0x20,0xd6,0xfa,0x04,0xa6,0x01,0x01,0x1b,0x00,0xff]

v_med3_i32_e64_dpp v5, v1, v2, s3 quad_perm:[3,2,1,0]
// GFX11: v_med3_i32_e64_dpp v5, v1, v2, s3 quad_perm:[3,2,1,0] row_mask:0xf bank_mask:0xf ; encoding: [0x05,0x00,0x20,0xd6,0xfa,0x04,0x0e,0x00,0x01,0x1b,0x00,0xff]

v_med3_i32_e64_dpp v5, v1, v2, src_scc quad_perm:[3,2,1,0]
// GFX11: v_med3_i32_e64_dpp v5, v1, v2, src_scc quad_perm:[3,2,1,0] row_mask:0xf bank_mask:0xf ; encoding: [0x05,0x00,0x20,0xd6,0xfa,0x04,0xf6,0x03,0x01,0x1b,0x00,0xff]

v_med3_i32_e64_dpp v5, v1, v2, ttmp15 quad_perm:[3,2,1,0]
// GFX11: v_med3_i32_e64_dpp v5, v1, v2, ttmp15 quad_perm:[3,2,1,0] row_mask:0xf bank_mask:0xf ; encoding: [0x05,0x00,0x20,0xd6,0xfa,0x04,0xee,0x01,0x01,0x1b,0x00,0xff]

v_med3_i32_e64_dpp v5, v1, v2, v255 quad_perm:[3,2,1,0]
// GFX11: v_med3_i32_e64_dpp v5, v1, v2, v255 quad_perm:[3,2,1,0] row_mask:0xf bank_mask:0xf ; encoding: [0x05,0x00,0x20,0xd6,0xfa,0x04,0xfe,0x07,0x01,0x1b,0x00,0xff]

v_med3_i32_e64_dpp v5, v1, v2, vcc_hi quad_perm:[3,2,1,0]
// GFX11: v_med3_i32_e64_dpp v5, v1, v2, vcc_hi quad_perm:[3,2,1,0] row_mask:0xf bank_mask:0xf ; encoding: [0x05,0x00,0x20,0xd6,0xfa,0x04,0xae,0x01,0x01,0x1b,0x00,0xff]

v_med3_i32_e64_dpp v5, v1, v2, vcc_lo quad_perm:[3,2,1,0]
// GFX11: v_med3_i32_e64_dpp v5, v1, v2, vcc_lo quad_perm:[3,2,1,0] row_mask:0xf bank_mask:0xf ; encoding: [0x05,0x00,0x20,0xd6,0xfa,0x04,0xaa,0x01,0x01,0x1b,0x00,0xff]

v_med3_i32_e64_dpp v5, v1, v2, v3 quad_perm:[3,2,1,0] bound_ctrl:0
// GFX11: v_med3_i32_e64_dpp v5, v1, v2, v3 quad_perm:[3,2,1,0] row_mask:0xf bank_mask:0xf ; encoding: [0x05,0x00,0x20,0xd6,0xfa,0x04,0x0e,0x04,0x01,0x1b,0x00,0xff]

v_med3_i32_e64_dpp v5, v1, v2, v3 quad_perm:[3,2,1,0] bound_ctrl:1
// GFX11: v_med3_i32_e64_dpp v5, v1, v2, v3 quad_perm:[3,2,1,0] row_mask:0xf bank_mask:0xf bound_ctrl:1 ; encoding: [0x05,0x00,0x20,0xd6,0xfa,0x04,0x0e,0x04,0x01,0x1b,0x08,0xff]

v_med3_i32_e64_dpp v5, v1, v2, v3 quad_perm:[0,1,2,3]
// GFX11: v_med3_i32_e64_dpp v5, v1, v2, v3 quad_perm:[0,1,2,3] row_mask:0xf bank_mask:0xf ; encoding: [0x05,0x00,0x20,0xd6,0xfa,0x04,0x0e,0x04,0x01,0xe4,0x00,0xff]

v_med3_i32_e64_dpp v5, v1, v2, v3 row_half_mirror
// GFX11: v_med3_i32_e64_dpp v5, v1, v2, v3 row_half_mirror row_mask:0xf bank_mask:0xf ; encoding: [0x05,0x00,0x20,0xd6,0xfa,0x04,0x0e,0x04,0x01,0x41,0x01,0xff]

v_med3_i32_e64_dpp v5, v1, v2, v3 row_mirror
// GFX11: v_med3_i32_e64_dpp v5, v1, v2, v3 row_mirror row_mask:0xf bank_mask:0xf ; encoding: [0x05,0x00,0x20,0xd6,0xfa,0x04,0x0e,0x04,0x01,0x40,0x01,0xff]

v_med3_i32_e64_dpp v5, v1, v2, v3 row_ror:1
// GFX11: v_med3_i32_e64_dpp v5, v1, v2, v3 row_ror:1 row_mask:0xf bank_mask:0xf ; encoding: [0x05,0x00,0x20,0xd6,0xfa,0x04,0x0e,0x04,0x01,0x21,0x01,0xff]

v_med3_i32_e64_dpp v5, v1, v2, v3 row_ror:15
// GFX11: v_med3_i32_e64_dpp v5, v1, v2, v3 row_ror:15 row_mask:0xf bank_mask:0xf ; encoding: [0x05,0x00,0x20,0xd6,0xfa,0x04,0x0e,0x04,0x01,0x2f,0x01,0xff]

v_med3_i32_e64_dpp v5, v1, v2, v3 row_share:0
// GFX11: v_med3_i32_e64_dpp v5, v1, v2, v3 row_share:0 row_mask:0xf bank_mask:0xf ; encoding: [0x05,0x00,0x20,0xd6,0xfa,0x04,0x0e,0x04,0x01,0x50,0x01,0xff]

v_med3_i32_e64_dpp v5, v1, v2, v3 row_share:15
// GFX11: v_med3_i32_e64_dpp v5, v1, v2, v3 row_share:15 row_mask:0xf bank_mask:0xf ; encoding: [0x05,0x00,0x20,0xd6,0xfa,0x04,0x0e,0x04,0x01,0x5f,0x01,0xff]

v_med3_i32_e64_dpp v5, v1, v2, v3 row_shl:1
// GFX11: v_med3_i32_e64_dpp v5, v1, v2, v3 row_shl:1 row_mask:0xf bank_mask:0xf ; encoding: [0x05,0x00,0x20,0xd6,0xfa,0x04,0x0e,0x04,0x01,0x01,0x01,0xff]

v_med3_i32_e64_dpp v5, v1, v2, v3 row_shl:15
// GFX11: v_med3_i32_e64_dpp v5, v1, v2, v3 row_shl:15 row_mask:0xf bank_mask:0xf ; encoding: [0x05,0x00,0x20,0xd6,0xfa,0x04,0x0e,0x04,0x01,0x0f,0x01,0xff]

v_med3_i32_e64_dpp v5, v1, v2, v3 row_shr:1
// GFX11: v_med3_i32_e64_dpp v5, v1, v2, v3 row_shr:1 row_mask:0xf bank_mask:0xf ; encoding: [0x05,0x00,0x20,0xd6,0xfa,0x04,0x0e,0x04,0x01,0x11,0x01,0xff]

v_med3_i32_e64_dpp v5, v1, v2, v3 row_shr:15
// GFX11: v_med3_i32_e64_dpp v5, v1, v2, v3 row_shr:15 row_mask:0xf bank_mask:0xf ; encoding: [0x05,0x00,0x20,0xd6,0xfa,0x04,0x0e,0x04,0x01,0x1f,0x01,0xff]

v_med3_i32_e64_dpp v5, v1, v2, v3 row_xmask:0
// GFX11: v_med3_i32_e64_dpp v5, v1, v2, v3 row_xmask:0 row_mask:0xf bank_mask:0xf ; encoding: [0x05,0x00,0x20,0xd6,0xfa,0x04,0x0e,0x04,0x01,0x60,0x01,0xff]

v_med3_i32_e64_dpp v5, v1, v2, v3 row_xmask:15
// GFX11: v_med3_i32_e64_dpp v5, v1, v2, v3 row_xmask:15 row_mask:0xf bank_mask:0xf ; encoding: [0x05,0x00,0x20,0xd6,0xfa,0x04,0x0e,0x04,0x01,0x6f,0x01,0xff]

v_med3_i32_e64_dpp v5, v1, v2, v3 quad_perm:[3,2,1,0] fi:0
// GFX11: v_med3_i32_e64_dpp v5, v1, v2, v3 quad_perm:[3,2,1,0] row_mask:0xf bank_mask:0xf ; encoding: [0x05,0x00,0x20,0xd6,0xfa,0x04,0x0e,0x04,0x01,0x1b,0x00,0xff]

v_med3_i32_e64_dpp v5, v1, v2, v3 quad_perm:[3,2,1,0] fi:1
// GFX11: v_med3_i32_e64_dpp v5, v1, v2, v3 quad_perm:[3,2,1,0] row_mask:0xf bank_mask:0xf fi:1 ; encoding: [0x05,0x00,0x20,0xd6,0xfa,0x04,0x0e,0x04,0x01,0x1b,0x04,0xff]

v_med3_i32_e64_dpp v5, v1, v2, v3 quad_perm:[3,2,1,0] row_mask:0x0 bank_mask:0x1
// GFX11: v_med3_i32_e64_dpp v5, v1, v2, v3 quad_perm:[3,2,1,0] row_mask:0x0 bank_mask:0x1 ; encoding: [0x05,0x00,0x20,0xd6,0xfa,0x04,0x0e,0x04,0x01,0x1b,0x00,0x01]

v_med3_i32_e64_dpp v5, v1, v2, v3 quad_perm:[3,2,1,0] row_mask:0x3 bank_mask:0x0
// GFX11: v_med3_i32_e64_dpp v5, v1, v2, v3 quad_perm:[3,2,1,0] row_mask:0x3 bank_mask:0x0 ; encoding: [0x05,0x00,0x20,0xd6,0xfa,0x04,0x0e,0x04,0x01,0x1b,0x00,0x30]

v_med3_i32_e64_dpp v5, v1, v2, v3 quad_perm:[3,2,1,0] row_mask:0xf bank_mask:0xf
// GFX11: v_med3_i32_e64_dpp v5, v1, v2, v3 quad_perm:[3,2,1,0] row_mask:0xf bank_mask:0xf ; encoding: [0x05,0x00,0x20,0xd6,0xfa,0x04,0x0e,0x04,0x01,0x1b,0x00,0xff]

v_med3_u16_e64_dpp v5.l, v1.l, v2.l, v3.l quad_perm:[3,2,1,0]
// GFX11: v_med3_u16_e64_dpp v5.l, v1.l, v2.l, v3.l quad_perm:[3,2,1,0] row_mask:0xf bank_mask:0xf ; encoding: [0x05,0x00,0x51,0xd6,0xfa,0x04,0x0e,0x04,0x01,0x1b,0x00,0xff]

v_med3_u16_e64_dpp v255.l, v255.l, v255.l, v255.l quad_perm:[3,2,1,0]
// GFX11: v_med3_u16_e64_dpp v255.l, v255.l, v255.l, v255.l quad_perm:[3,2,1,0] row_mask:0xf bank_mask:0xf ; encoding: [0xff,0x00,0x51,0xd6,0xfa,0xfe,0xff,0x07,0xff,0x1b,0x00,0xff]

v_med3_u16_e64_dpp v5.l, v1.l, v2.l, -1 quad_perm:[3,2,1,0]
// GFX11: v_med3_u16_e64_dpp v5.l, v1.l, v2.l, -1 quad_perm:[3,2,1,0] row_mask:0xf bank_mask:0xf ; encoding: [0x05,0x00,0x51,0xd6,0xfa,0x04,0x06,0x03,0x01,0x1b,0x00,0xff]

v_med3_u16_e64_dpp v5.l, v1.l, v2.l, 0.5 quad_perm:[3,2,1,0]
// GFX11: v_med3_u16_e64_dpp v5.l, v1.l, v2.l, 0.5 quad_perm:[3,2,1,0] row_mask:0xf bank_mask:0xf ; encoding: [0x05,0x00,0x51,0xd6,0xfa,0x04,0xc2,0x03,0x01,0x1b,0x00,0xff]

v_med3_u16_e64_dpp v5.l, v1.l, v2.l, exec_hi quad_perm:[3,2,1,0]
// GFX11: v_med3_u16_e64_dpp v5.l, v1.l, v2.l, exec_hi quad_perm:[3,2,1,0] row_mask:0xf bank_mask:0xf ; encoding: [0x05,0x00,0x51,0xd6,0xfa,0x04,0xfe,0x01,0x01,0x1b,0x00,0xff]

v_med3_u16_e64_dpp v5.l, v1.l, v2.l, exec_lo quad_perm:[3,2,1,0]
// GFX11: v_med3_u16_e64_dpp v5.l, v1.l, v2.l, exec_lo quad_perm:[3,2,1,0] row_mask:0xf bank_mask:0xf ; encoding: [0x05,0x00,0x51,0xd6,0xfa,0x04,0xfa,0x01,0x01,0x1b,0x00,0xff]

v_med3_u16_e64_dpp v5.l, v1.l, v2.l, m0 quad_perm:[3,2,1,0]
// GFX11: v_med3_u16_e64_dpp v5.l, v1.l, v2.l, m0 quad_perm:[3,2,1,0] row_mask:0xf bank_mask:0xf ; encoding: [0x05,0x00,0x51,0xd6,0xfa,0x04,0xf6,0x01,0x01,0x1b,0x00,0xff]

v_med3_u16_e64_dpp v5.l, v1.l, v2.l, null quad_perm:[3,2,1,0]
// GFX11: v_med3_u16_e64_dpp v5.l, v1.l, v2.l, null quad_perm:[3,2,1,0] row_mask:0xf bank_mask:0xf ; encoding: [0x05,0x00,0x51,0xd6,0xfa,0x04,0xf2,0x01,0x01,0x1b,0x00,0xff]

v_med3_u16_e64_dpp v5.l, v1.l, v2.l, s105 quad_perm:[3,2,1,0]
// GFX11: v_med3_u16_e64_dpp v5.l, v1.l, v2.l, s105 quad_perm:[3,2,1,0] row_mask:0xf bank_mask:0xf ; encoding: [0x05,0x00,0x51,0xd6,0xfa,0x04,0xa6,0x01,0x01,0x1b,0x00,0xff]

v_med3_u16_e64_dpp v5.l, v1.l, v2.l, s3 quad_perm:[3,2,1,0]
// GFX11: v_med3_u16_e64_dpp v5.l, v1.l, v2.l, s3 quad_perm:[3,2,1,0] row_mask:0xf bank_mask:0xf ; encoding: [0x05,0x00,0x51,0xd6,0xfa,0x04,0x0e,0x00,0x01,0x1b,0x00,0xff]

v_med3_u16_e64_dpp v5.l, v1.l, v2.l, src_scc quad_perm:[3,2,1,0]
// GFX11: v_med3_u16_e64_dpp v5.l, v1.l, v2.l, src_scc quad_perm:[3,2,1,0] row_mask:0xf bank_mask:0xf ; encoding: [0x05,0x00,0x51,0xd6,0xfa,0x04,0xf6,0x03,0x01,0x1b,0x00,0xff]

v_med3_u16_e64_dpp v5.l, v1.l, v2.l, ttmp15 quad_perm:[3,2,1,0]
// GFX11: v_med3_u16_e64_dpp v5.l, v1.l, v2.l, ttmp15 quad_perm:[3,2,1,0] row_mask:0xf bank_mask:0xf ; encoding: [0x05,0x00,0x51,0xd6,0xfa,0x04,0xee,0x01,0x01,0x1b,0x00,0xff]

v_med3_u16_e64_dpp v5.l, v1.l, v2.l, v255.h quad_perm:[3,2,1,0]
// GFX11: v_med3_u16_e64_dpp v5.l, v1.l, v2.l, v255.h op_sel:[0,0,1,0] quad_perm:[3,2,1,0] row_mask:0xf bank_mask:0xf ; encoding: [0x05,0x20,0x51,0xd6,0xfa,0x04,0xfe,0x07,0x01,0x1b,0x00,0xff]

v_med3_u16_e64_dpp v5.l, v1.l, v2.l, v255.l quad_perm:[3,2,1,0]
// GFX11: v_med3_u16_e64_dpp v5.l, v1.l, v2.l, v255.l quad_perm:[3,2,1,0] row_mask:0xf bank_mask:0xf ; encoding: [0x05,0x00,0x51,0xd6,0xfa,0x04,0xfe,0x07,0x01,0x1b,0x00,0xff]

v_med3_u16_e64_dpp v5.l, v1.l, v2.l, v3.h quad_perm:[3,2,1,0]
// GFX11: v_med3_u16_e64_dpp v5.l, v1.l, v2.l, v3.h op_sel:[0,0,1,0] quad_perm:[3,2,1,0] row_mask:0xf bank_mask:0xf ; encoding: [0x05,0x20,0x51,0xd6,0xfa,0x04,0x0e,0x04,0x01,0x1b,0x00,0xff]

v_med3_u16_e64_dpp v5.l, v1.l, v2.l, vcc_hi quad_perm:[3,2,1,0]
// GFX11: v_med3_u16_e64_dpp v5.l, v1.l, v2.l, vcc_hi quad_perm:[3,2,1,0] row_mask:0xf bank_mask:0xf ; encoding: [0x05,0x00,0x51,0xd6,0xfa,0x04,0xae,0x01,0x01,0x1b,0x00,0xff]

v_med3_u16_e64_dpp v5.l, v1.l, v2.l, vcc_lo quad_perm:[3,2,1,0]
// GFX11: v_med3_u16_e64_dpp v5.l, v1.l, v2.l, vcc_lo quad_perm:[3,2,1,0] row_mask:0xf bank_mask:0xf ; encoding: [0x05,0x00,0x51,0xd6,0xfa,0x04,0xaa,0x01,0x01,0x1b,0x00,0xff]

v_med3_u16_e64_dpp v5.l, v1.h, v2.l, v3.l op_sel:[1,0,0,0] quad_perm:[3,2,1,0]
// GFX11: v_med3_u16_e64_dpp v5.l, v1.h, v2.l, v3.l op_sel:[1,0,0,0] quad_perm:[3,2,1,0] row_mask:0xf bank_mask:0xf ; encoding: [0x05,0x08,0x51,0xd6,0xfa,0x04,0x0e,0x04,0x01,0x1b,0x00,0xff]

v_med3_u16_e64_dpp v5.l, v1.l, v2.h, v3.l op_sel:[0,1,0,0] quad_perm:[3,2,1,0]
// GFX11: v_med3_u16_e64_dpp v5.l, v1.l, v2.h, v3.l op_sel:[0,1,0,0] quad_perm:[3,2,1,0] row_mask:0xf bank_mask:0xf ; encoding: [0x05,0x10,0x51,0xd6,0xfa,0x04,0x0e,0x04,0x01,0x1b,0x00,0xff]

v_med3_u16_e64_dpp v5.l, v1.l, v2.l, v3.h op_sel:[0,0,1,0] quad_perm:[3,2,1,0]
// GFX11: v_med3_u16_e64_dpp v5.l, v1.l, v2.l, v3.h op_sel:[0,0,1,0] quad_perm:[3,2,1,0] row_mask:0xf bank_mask:0xf ; encoding: [0x05,0x20,0x51,0xd6,0xfa,0x04,0x0e,0x04,0x01,0x1b,0x00,0xff]

v_med3_u16_e64_dpp v5.l, v1.l, v2.l, v3.l quad_perm:[3,2,1,0] bound_ctrl:0
// GFX11: v_med3_u16_e64_dpp v5.l, v1.l, v2.l, v3.l quad_perm:[3,2,1,0] row_mask:0xf bank_mask:0xf ; encoding: [0x05,0x00,0x51,0xd6,0xfa,0x04,0x0e,0x04,0x01,0x1b,0x00,0xff]

v_med3_u16_e64_dpp v5.l, v1.l, v2.l, v3.l quad_perm:[3,2,1,0] bound_ctrl:1
// GFX11: v_med3_u16_e64_dpp v5.l, v1.l, v2.l, v3.l quad_perm:[3,2,1,0] row_mask:0xf bank_mask:0xf bound_ctrl:1 ; encoding: [0x05,0x00,0x51,0xd6,0xfa,0x04,0x0e,0x04,0x01,0x1b,0x08,0xff]

v_med3_u16_e64_dpp v5.l, v1.l, v2.l, v3.l quad_perm:[0,1,2,3]
// GFX11: v_med3_u16_e64_dpp v5.l, v1.l, v2.l, v3.l quad_perm:[0,1,2,3] row_mask:0xf bank_mask:0xf ; encoding: [0x05,0x00,0x51,0xd6,0xfa,0x04,0x0e,0x04,0x01,0xe4,0x00,0xff]

v_med3_u16_e64_dpp v5.l, v1.l, v2.l, v3.l row_half_mirror
// GFX11: v_med3_u16_e64_dpp v5.l, v1.l, v2.l, v3.l row_half_mirror row_mask:0xf bank_mask:0xf ; encoding: [0x05,0x00,0x51,0xd6,0xfa,0x04,0x0e,0x04,0x01,0x41,0x01,0xff]

v_med3_u16_e64_dpp v5.l, v1.l, v2.l, v3.l row_mirror
// GFX11: v_med3_u16_e64_dpp v5.l, v1.l, v2.l, v3.l row_mirror row_mask:0xf bank_mask:0xf ; encoding: [0x05,0x00,0x51,0xd6,0xfa,0x04,0x0e,0x04,0x01,0x40,0x01,0xff]

v_med3_u16_e64_dpp v5.l, v1.l, v2.l, v3.l row_ror:1
// GFX11: v_med3_u16_e64_dpp v5.l, v1.l, v2.l, v3.l row_ror:1 row_mask:0xf bank_mask:0xf ; encoding: [0x05,0x00,0x51,0xd6,0xfa,0x04,0x0e,0x04,0x01,0x21,0x01,0xff]

v_med3_u16_e64_dpp v5.l, v1.l, v2.l, v3.l row_ror:15
// GFX11: v_med3_u16_e64_dpp v5.l, v1.l, v2.l, v3.l row_ror:15 row_mask:0xf bank_mask:0xf ; encoding: [0x05,0x00,0x51,0xd6,0xfa,0x04,0x0e,0x04,0x01,0x2f,0x01,0xff]

v_med3_u16_e64_dpp v5.l, v1.l, v2.l, v3.l row_share:0
// GFX11: v_med3_u16_e64_dpp v5.l, v1.l, v2.l, v3.l row_share:0 row_mask:0xf bank_mask:0xf ; encoding: [0x05,0x00,0x51,0xd6,0xfa,0x04,0x0e,0x04,0x01,0x50,0x01,0xff]

v_med3_u16_e64_dpp v5.l, v1.l, v2.l, v3.l row_share:15
// GFX11: v_med3_u16_e64_dpp v5.l, v1.l, v2.l, v3.l row_share:15 row_mask:0xf bank_mask:0xf ; encoding: [0x05,0x00,0x51,0xd6,0xfa,0x04,0x0e,0x04,0x01,0x5f,0x01,0xff]

v_med3_u16_e64_dpp v5.l, v1.l, v2.l, v3.l row_shl:1
// GFX11: v_med3_u16_e64_dpp v5.l, v1.l, v2.l, v3.l row_shl:1 row_mask:0xf bank_mask:0xf ; encoding: [0x05,0x00,0x51,0xd6,0xfa,0x04,0x0e,0x04,0x01,0x01,0x01,0xff]

v_med3_u16_e64_dpp v5.l, v1.l, v2.l, v3.l row_shl:15
// GFX11: v_med3_u16_e64_dpp v5.l, v1.l, v2.l, v3.l row_shl:15 row_mask:0xf bank_mask:0xf ; encoding: [0x05,0x00,0x51,0xd6,0xfa,0x04,0x0e,0x04,0x01,0x0f,0x01,0xff]

v_med3_u16_e64_dpp v5.l, v1.l, v2.l, v3.l row_shr:1
// GFX11: v_med3_u16_e64_dpp v5.l, v1.l, v2.l, v3.l row_shr:1 row_mask:0xf bank_mask:0xf ; encoding: [0x05,0x00,0x51,0xd6,0xfa,0x04,0x0e,0x04,0x01,0x11,0x01,0xff]

v_med3_u16_e64_dpp v5.l, v1.l, v2.l, v3.l row_shr:15
// GFX11: v_med3_u16_e64_dpp v5.l, v1.l, v2.l, v3.l row_shr:15 row_mask:0xf bank_mask:0xf ; encoding: [0x05,0x00,0x51,0xd6,0xfa,0x04,0x0e,0x04,0x01,0x1f,0x01,0xff]

v_med3_u16_e64_dpp v5.l, v1.l, v2.l, v3.l row_xmask:0
// GFX11: v_med3_u16_e64_dpp v5.l, v1.l, v2.l, v3.l row_xmask:0 row_mask:0xf bank_mask:0xf ; encoding: [0x05,0x00,0x51,0xd6,0xfa,0x04,0x0e,0x04,0x01,0x60,0x01,0xff]

v_med3_u16_e64_dpp v5.l, v1.l, v2.l, v3.l row_xmask:15
// GFX11: v_med3_u16_e64_dpp v5.l, v1.l, v2.l, v3.l row_xmask:15 row_mask:0xf bank_mask:0xf ; encoding: [0x05,0x00,0x51,0xd6,0xfa,0x04,0x0e,0x04,0x01,0x6f,0x01,0xff]

v_med3_u16_e64_dpp v5.l, v1.l, v2.l, v3.l quad_perm:[3,2,1,0] fi:0
// GFX11: v_med3_u16_e64_dpp v5.l, v1.l, v2.l, v3.l quad_perm:[3,2,1,0] row_mask:0xf bank_mask:0xf ; encoding: [0x05,0x00,0x51,0xd6,0xfa,0x04,0x0e,0x04,0x01,0x1b,0x00,0xff]

v_med3_u16_e64_dpp v5.l, v1.l, v2.l, v3.l quad_perm:[3,2,1,0] fi:1
// GFX11: v_med3_u16_e64_dpp v5.l, v1.l, v2.l, v3.l quad_perm:[3,2,1,0] row_mask:0xf bank_mask:0xf fi:1 ; encoding: [0x05,0x00,0x51,0xd6,0xfa,0x04,0x0e,0x04,0x01,0x1b,0x04,0xff]

v_med3_u16_e64_dpp v5.l, v1.l, v2.l, v3.l quad_perm:[3,2,1,0] row_mask:0x0 bank_mask:0x1
// GFX11: v_med3_u16_e64_dpp v5.l, v1.l, v2.l, v3.l quad_perm:[3,2,1,0] row_mask:0x0 bank_mask:0x1 ; encoding: [0x05,0x00,0x51,0xd6,0xfa,0x04,0x0e,0x04,0x01,0x1b,0x00,0x01]

v_med3_u16_e64_dpp v5.l, v1.l, v2.l, v3.l quad_perm:[3,2,1,0] row_mask:0x3 bank_mask:0x0
// GFX11: v_med3_u16_e64_dpp v5.l, v1.l, v2.l, v3.l quad_perm:[3,2,1,0] row_mask:0x3 bank_mask:0x0 ; encoding: [0x05,0x00,0x51,0xd6,0xfa,0x04,0x0e,0x04,0x01,0x1b,0x00,0x30]

v_med3_u16_e64_dpp v5.l, v1.l, v2.l, v3.l quad_perm:[3,2,1,0] row_mask:0xf bank_mask:0xf
// GFX11: v_med3_u16_e64_dpp v5.l, v1.l, v2.l, v3.l quad_perm:[3,2,1,0] row_mask:0xf bank_mask:0xf ; encoding: [0x05,0x00,0x51,0xd6,0xfa,0x04,0x0e,0x04,0x01,0x1b,0x00,0xff]

v_med3_u32_e64_dpp v5, v1, v2, v3 quad_perm:[3,2,1,0]
// GFX11: v_med3_u32_e64_dpp v5, v1, v2, v3 quad_perm:[3,2,1,0] row_mask:0xf bank_mask:0xf ; encoding: [0x05,0x00,0x21,0xd6,0xfa,0x04,0x0e,0x04,0x01,0x1b,0x00,0xff]

v_med3_u32_e64_dpp v255, v255, v255, v255 quad_perm:[3,2,1,0]
// GFX11: v_med3_u32_e64_dpp v255, v255, v255, v255 quad_perm:[3,2,1,0] row_mask:0xf bank_mask:0xf ; encoding: [0xff,0x00,0x21,0xd6,0xfa,0xfe,0xff,0x07,0xff,0x1b,0x00,0xff]

v_med3_u32_e64_dpp v5, v1, v2, -1 quad_perm:[3,2,1,0]
// GFX11: v_med3_u32_e64_dpp v5, v1, v2, -1 quad_perm:[3,2,1,0] row_mask:0xf bank_mask:0xf ; encoding: [0x05,0x00,0x21,0xd6,0xfa,0x04,0x06,0x03,0x01,0x1b,0x00,0xff]

v_med3_u32_e64_dpp v5, v1, v2, 0.5 quad_perm:[3,2,1,0]
// GFX11: v_med3_u32_e64_dpp v5, v1, v2, 0.5 quad_perm:[3,2,1,0] row_mask:0xf bank_mask:0xf ; encoding: [0x05,0x00,0x21,0xd6,0xfa,0x04,0xc2,0x03,0x01,0x1b,0x00,0xff]

v_med3_u32_e64_dpp v5, v1, v2, exec_hi quad_perm:[3,2,1,0]
// GFX11: v_med3_u32_e64_dpp v5, v1, v2, exec_hi quad_perm:[3,2,1,0] row_mask:0xf bank_mask:0xf ; encoding: [0x05,0x00,0x21,0xd6,0xfa,0x04,0xfe,0x01,0x01,0x1b,0x00,0xff]

v_med3_u32_e64_dpp v5, v1, v2, exec_lo quad_perm:[3,2,1,0]
// GFX11: v_med3_u32_e64_dpp v5, v1, v2, exec_lo quad_perm:[3,2,1,0] row_mask:0xf bank_mask:0xf ; encoding: [0x05,0x00,0x21,0xd6,0xfa,0x04,0xfa,0x01,0x01,0x1b,0x00,0xff]

v_med3_u32_e64_dpp v5, v1, v2, m0 quad_perm:[3,2,1,0]
// GFX11: v_med3_u32_e64_dpp v5, v1, v2, m0 quad_perm:[3,2,1,0] row_mask:0xf bank_mask:0xf ; encoding: [0x05,0x00,0x21,0xd6,0xfa,0x04,0xf6,0x01,0x01,0x1b,0x00,0xff]

v_med3_u32_e64_dpp v5, v1, v2, null quad_perm:[3,2,1,0]
// GFX11: v_med3_u32_e64_dpp v5, v1, v2, null quad_perm:[3,2,1,0] row_mask:0xf bank_mask:0xf ; encoding: [0x05,0x00,0x21,0xd6,0xfa,0x04,0xf2,0x01,0x01,0x1b,0x00,0xff]

v_med3_u32_e64_dpp v5, v1, v2, s105 quad_perm:[3,2,1,0]
// GFX11: v_med3_u32_e64_dpp v5, v1, v2, s105 quad_perm:[3,2,1,0] row_mask:0xf bank_mask:0xf ; encoding: [0x05,0x00,0x21,0xd6,0xfa,0x04,0xa6,0x01,0x01,0x1b,0x00,0xff]

v_med3_u32_e64_dpp v5, v1, v2, s3 quad_perm:[3,2,1,0]
// GFX11: v_med3_u32_e64_dpp v5, v1, v2, s3 quad_perm:[3,2,1,0] row_mask:0xf bank_mask:0xf ; encoding: [0x05,0x00,0x21,0xd6,0xfa,0x04,0x0e,0x00,0x01,0x1b,0x00,0xff]

v_med3_u32_e64_dpp v5, v1, v2, src_scc quad_perm:[3,2,1,0]
// GFX11: v_med3_u32_e64_dpp v5, v1, v2, src_scc quad_perm:[3,2,1,0] row_mask:0xf bank_mask:0xf ; encoding: [0x05,0x00,0x21,0xd6,0xfa,0x04,0xf6,0x03,0x01,0x1b,0x00,0xff]

v_med3_u32_e64_dpp v5, v1, v2, ttmp15 quad_perm:[3,2,1,0]
// GFX11: v_med3_u32_e64_dpp v5, v1, v2, ttmp15 quad_perm:[3,2,1,0] row_mask:0xf bank_mask:0xf ; encoding: [0x05,0x00,0x21,0xd6,0xfa,0x04,0xee,0x01,0x01,0x1b,0x00,0xff]

v_med3_u32_e64_dpp v5, v1, v2, v255 quad_perm:[3,2,1,0]
// GFX11: v_med3_u32_e64_dpp v5, v1, v2, v255 quad_perm:[3,2,1,0] row_mask:0xf bank_mask:0xf ; encoding: [0x05,0x00,0x21,0xd6,0xfa,0x04,0xfe,0x07,0x01,0x1b,0x00,0xff]

v_med3_u32_e64_dpp v5, v1, v2, vcc_hi quad_perm:[3,2,1,0]
// GFX11: v_med3_u32_e64_dpp v5, v1, v2, vcc_hi quad_perm:[3,2,1,0] row_mask:0xf bank_mask:0xf ; encoding: [0x05,0x00,0x21,0xd6,0xfa,0x04,0xae,0x01,0x01,0x1b,0x00,0xff]

v_med3_u32_e64_dpp v5, v1, v2, vcc_lo quad_perm:[3,2,1,0]
// GFX11: v_med3_u32_e64_dpp v5, v1, v2, vcc_lo quad_perm:[3,2,1,0] row_mask:0xf bank_mask:0xf ; encoding: [0x05,0x00,0x21,0xd6,0xfa,0x04,0xaa,0x01,0x01,0x1b,0x00,0xff]

v_med3_u32_e64_dpp v5, v1, v2, v3 quad_perm:[3,2,1,0] bound_ctrl:0
// GFX11: v_med3_u32_e64_dpp v5, v1, v2, v3 quad_perm:[3,2,1,0] row_mask:0xf bank_mask:0xf ; encoding: [0x05,0x00,0x21,0xd6,0xfa,0x04,0x0e,0x04,0x01,0x1b,0x00,0xff]

v_med3_u32_e64_dpp v5, v1, v2, v3 quad_perm:[3,2,1,0] bound_ctrl:1
// GFX11: v_med3_u32_e64_dpp v5, v1, v2, v3 quad_perm:[3,2,1,0] row_mask:0xf bank_mask:0xf bound_ctrl:1 ; encoding: [0x05,0x00,0x21,0xd6,0xfa,0x04,0x0e,0x04,0x01,0x1b,0x08,0xff]

v_med3_u32_e64_dpp v5, v1, v2, v3 quad_perm:[0,1,2,3]
// GFX11: v_med3_u32_e64_dpp v5, v1, v2, v3 quad_perm:[0,1,2,3] row_mask:0xf bank_mask:0xf ; encoding: [0x05,0x00,0x21,0xd6,0xfa,0x04,0x0e,0x04,0x01,0xe4,0x00,0xff]

v_med3_u32_e64_dpp v5, v1, v2, v3 row_half_mirror
// GFX11: v_med3_u32_e64_dpp v5, v1, v2, v3 row_half_mirror row_mask:0xf bank_mask:0xf ; encoding: [0x05,0x00,0x21,0xd6,0xfa,0x04,0x0e,0x04,0x01,0x41,0x01,0xff]

v_med3_u32_e64_dpp v5, v1, v2, v3 row_mirror
// GFX11: v_med3_u32_e64_dpp v5, v1, v2, v3 row_mirror row_mask:0xf bank_mask:0xf ; encoding: [0x05,0x00,0x21,0xd6,0xfa,0x04,0x0e,0x04,0x01,0x40,0x01,0xff]

v_med3_u32_e64_dpp v5, v1, v2, v3 row_ror:1
// GFX11: v_med3_u32_e64_dpp v5, v1, v2, v3 row_ror:1 row_mask:0xf bank_mask:0xf ; encoding: [0x05,0x00,0x21,0xd6,0xfa,0x04,0x0e,0x04,0x01,0x21,0x01,0xff]

v_med3_u32_e64_dpp v5, v1, v2, v3 row_ror:15
// GFX11: v_med3_u32_e64_dpp v5, v1, v2, v3 row_ror:15 row_mask:0xf bank_mask:0xf ; encoding: [0x05,0x00,0x21,0xd6,0xfa,0x04,0x0e,0x04,0x01,0x2f,0x01,0xff]

v_med3_u32_e64_dpp v5, v1, v2, v3 row_share:0
// GFX11: v_med3_u32_e64_dpp v5, v1, v2, v3 row_share:0 row_mask:0xf bank_mask:0xf ; encoding: [0x05,0x00,0x21,0xd6,0xfa,0x04,0x0e,0x04,0x01,0x50,0x01,0xff]

v_med3_u32_e64_dpp v5, v1, v2, v3 row_share:15
// GFX11: v_med3_u32_e64_dpp v5, v1, v2, v3 row_share:15 row_mask:0xf bank_mask:0xf ; encoding: [0x05,0x00,0x21,0xd6,0xfa,0x04,0x0e,0x04,0x01,0x5f,0x01,0xff]

v_med3_u32_e64_dpp v5, v1, v2, v3 row_shl:1
// GFX11: v_med3_u32_e64_dpp v5, v1, v2, v3 row_shl:1 row_mask:0xf bank_mask:0xf ; encoding: [0x05,0x00,0x21,0xd6,0xfa,0x04,0x0e,0x04,0x01,0x01,0x01,0xff]

v_med3_u32_e64_dpp v5, v1, v2, v3 row_shl:15
// GFX11: v_med3_u32_e64_dpp v5, v1, v2, v3 row_shl:15 row_mask:0xf bank_mask:0xf ; encoding: [0x05,0x00,0x21,0xd6,0xfa,0x04,0x0e,0x04,0x01,0x0f,0x01,0xff]

v_med3_u32_e64_dpp v5, v1, v2, v3 row_shr:1
// GFX11: v_med3_u32_e64_dpp v5, v1, v2, v3 row_shr:1 row_mask:0xf bank_mask:0xf ; encoding: [0x05,0x00,0x21,0xd6,0xfa,0x04,0x0e,0x04,0x01,0x11,0x01,0xff]

v_med3_u32_e64_dpp v5, v1, v2, v3 row_shr:15
// GFX11: v_med3_u32_e64_dpp v5, v1, v2, v3 row_shr:15 row_mask:0xf bank_mask:0xf ; encoding: [0x05,0x00,0x21,0xd6,0xfa,0x04,0x0e,0x04,0x01,0x1f,0x01,0xff]

v_med3_u32_e64_dpp v5, v1, v2, v3 row_xmask:0
// GFX11: v_med3_u32_e64_dpp v5, v1, v2, v3 row_xmask:0 row_mask:0xf bank_mask:0xf ; encoding: [0x05,0x00,0x21,0xd6,0xfa,0x04,0x0e,0x04,0x01,0x60,0x01,0xff]

v_med3_u32_e64_dpp v5, v1, v2, v3 row_xmask:15
// GFX11: v_med3_u32_e64_dpp v5, v1, v2, v3 row_xmask:15 row_mask:0xf bank_mask:0xf ; encoding: [0x05,0x00,0x21,0xd6,0xfa,0x04,0x0e,0x04,0x01,0x6f,0x01,0xff]

v_med3_u32_e64_dpp v5, v1, v2, v3 quad_perm:[3,2,1,0] fi:0
// GFX11: v_med3_u32_e64_dpp v5, v1, v2, v3 quad_perm:[3,2,1,0] row_mask:0xf bank_mask:0xf ; encoding: [0x05,0x00,0x21,0xd6,0xfa,0x04,0x0e,0x04,0x01,0x1b,0x00,0xff]

v_med3_u32_e64_dpp v5, v1, v2, v3 quad_perm:[3,2,1,0] fi:1
// GFX11: v_med3_u32_e64_dpp v5, v1, v2, v3 quad_perm:[3,2,1,0] row_mask:0xf bank_mask:0xf fi:1 ; encoding: [0x05,0x00,0x21,0xd6,0xfa,0x04,0x0e,0x04,0x01,0x1b,0x04,0xff]

v_med3_u32_e64_dpp v5, v1, v2, v3 quad_perm:[3,2,1,0] row_mask:0x0 bank_mask:0x1
// GFX11: v_med3_u32_e64_dpp v5, v1, v2, v3 quad_perm:[3,2,1,0] row_mask:0x0 bank_mask:0x1 ; encoding: [0x05,0x00,0x21,0xd6,0xfa,0x04,0x0e,0x04,0x01,0x1b,0x00,0x01]

v_med3_u32_e64_dpp v5, v1, v2, v3 quad_perm:[3,2,1,0] row_mask:0x3 bank_mask:0x0
// GFX11: v_med3_u32_e64_dpp v5, v1, v2, v3 quad_perm:[3,2,1,0] row_mask:0x3 bank_mask:0x0 ; encoding: [0x05,0x00,0x21,0xd6,0xfa,0x04,0x0e,0x04,0x01,0x1b,0x00,0x30]
	;; [unrolled: 3-line block ×3, first 2 shown]

v_min3_f16_e64_dpp v5.l, v1.l, v2.l, v3.l quad_perm:[3,2,1,0]
// GFX11: v_min3_f16_e64_dpp v5.l, v1.l, v2.l, v3.l quad_perm:[3,2,1,0] row_mask:0xf bank_mask:0xf ; encoding: [0x05,0x00,0x49,0xd6,0xfa,0x04,0x0e,0x04,0x01,0x1b,0x00,0xff]

v_min3_f16_e64_dpp v255.l, v255.l, v255.l, v255.l quad_perm:[3,2,1,0]
// GFX11: v_min3_f16_e64_dpp v255.l, v255.l, v255.l, v255.l quad_perm:[3,2,1,0] row_mask:0xf bank_mask:0xf ; encoding: [0xff,0x00,0x49,0xd6,0xfa,0xfe,0xff,0x07,0xff,0x1b,0x00,0xff]

v_min3_f16_e64_dpp v5.l, -v7.l, v2.l, v3.l quad_perm:[3,2,1,0]
// GFX11: v_min3_f16_e64_dpp v5.l, -v7.l, v2.l, v3.l quad_perm:[3,2,1,0] row_mask:0xf bank_mask:0xf ; encoding: [0x05,0x00,0x49,0xd6,0xfa,0x04,0x0e,0x24,0x07,0x1b,0x00,0xff]

v_min3_f16_e64_dpp v5.l, |v7.l|, v2.l, v3.l quad_perm:[3,2,1,0]
// GFX11: v_min3_f16_e64_dpp v5.l, |v7.l|, v2.l, v3.l quad_perm:[3,2,1,0] row_mask:0xf bank_mask:0xf ; encoding: [0x05,0x01,0x49,0xd6,0xfa,0x04,0x0e,0x04,0x07,0x1b,0x00,0xff]

v_min3_f16_e64_dpp v5.l, -|v7.l|, v2.l, v3.l quad_perm:[3,2,1,0]
// GFX11: v_min3_f16_e64_dpp v5.l, -|v7.l|, v2.l, v3.l quad_perm:[3,2,1,0] row_mask:0xf bank_mask:0xf ; encoding: [0x05,0x01,0x49,0xd6,0xfa,0x04,0x0e,0x24,0x07,0x1b,0x00,0xff]

v_min3_f16_e64_dpp v5.l, v1.l, -v7.l, v3.l quad_perm:[3,2,1,0]
// GFX11: v_min3_f16_e64_dpp v5.l, v1.l, -v7.l, v3.l quad_perm:[3,2,1,0] row_mask:0xf bank_mask:0xf ; encoding: [0x05,0x00,0x49,0xd6,0xfa,0x0e,0x0e,0x44,0x01,0x1b,0x00,0xff]

v_min3_f16_e64_dpp v5.l, v1.l, |v7.l|, v3.l quad_perm:[3,2,1,0]
// GFX11: v_min3_f16_e64_dpp v5.l, v1.l, |v7.l|, v3.l quad_perm:[3,2,1,0] row_mask:0xf bank_mask:0xf ; encoding: [0x05,0x02,0x49,0xd6,0xfa,0x0e,0x0e,0x04,0x01,0x1b,0x00,0xff]

v_min3_f16_e64_dpp v5.l, v1.l, -|v7.l|, v3.l quad_perm:[3,2,1,0]
// GFX11: v_min3_f16_e64_dpp v5.l, v1.l, -|v7.l|, v3.l quad_perm:[3,2,1,0] row_mask:0xf bank_mask:0xf ; encoding: [0x05,0x02,0x49,0xd6,0xfa,0x0e,0x0e,0x44,0x01,0x1b,0x00,0xff]

v_min3_f16_e64_dpp v5.l, v1.l, v2.l, -1 quad_perm:[3,2,1,0]
// GFX11: v_min3_f16_e64_dpp v5.l, v1.l, v2.l, -1 quad_perm:[3,2,1,0] row_mask:0xf bank_mask:0xf ; encoding: [0x05,0x00,0x49,0xd6,0xfa,0x04,0x06,0x03,0x01,0x1b,0x00,0xff]

v_min3_f16_e64_dpp v5.l, v1.l, v2.l, 0.5 quad_perm:[3,2,1,0]
// GFX11: v_min3_f16_e64_dpp v5.l, v1.l, v2.l, 0.5 quad_perm:[3,2,1,0] row_mask:0xf bank_mask:0xf ; encoding: [0x05,0x00,0x49,0xd6,0xfa,0x04,0xc2,0x03,0x01,0x1b,0x00,0xff]

v_min3_f16_e64_dpp v5.l, v1.l, v2.l, exec_hi quad_perm:[3,2,1,0]
// GFX11: v_min3_f16_e64_dpp v5.l, v1.l, v2.l, exec_hi quad_perm:[3,2,1,0] row_mask:0xf bank_mask:0xf ; encoding: [0x05,0x00,0x49,0xd6,0xfa,0x04,0xfe,0x01,0x01,0x1b,0x00,0xff]

v_min3_f16_e64_dpp v5.l, v1.l, v2.l, exec_lo quad_perm:[3,2,1,0]
// GFX11: v_min3_f16_e64_dpp v5.l, v1.l, v2.l, exec_lo quad_perm:[3,2,1,0] row_mask:0xf bank_mask:0xf ; encoding: [0x05,0x00,0x49,0xd6,0xfa,0x04,0xfa,0x01,0x01,0x1b,0x00,0xff]

v_min3_f16_e64_dpp v5.l, v1.l, v2.l, m0 quad_perm:[3,2,1,0]
// GFX11: v_min3_f16_e64_dpp v5.l, v1.l, v2.l, m0 quad_perm:[3,2,1,0] row_mask:0xf bank_mask:0xf ; encoding: [0x05,0x00,0x49,0xd6,0xfa,0x04,0xf6,0x01,0x01,0x1b,0x00,0xff]

v_min3_f16_e64_dpp v5.l, v1.l, v2.l, null quad_perm:[3,2,1,0]
// GFX11: v_min3_f16_e64_dpp v5.l, v1.l, v2.l, null quad_perm:[3,2,1,0] row_mask:0xf bank_mask:0xf ; encoding: [0x05,0x00,0x49,0xd6,0xfa,0x04,0xf2,0x01,0x01,0x1b,0x00,0xff]

v_min3_f16_e64_dpp v5.l, v1.l, v2.l, s105 quad_perm:[3,2,1,0]
// GFX11: v_min3_f16_e64_dpp v5.l, v1.l, v2.l, s105 quad_perm:[3,2,1,0] row_mask:0xf bank_mask:0xf ; encoding: [0x05,0x00,0x49,0xd6,0xfa,0x04,0xa6,0x01,0x01,0x1b,0x00,0xff]

v_min3_f16_e64_dpp v5.l, v1.l, v2.l, s3 quad_perm:[3,2,1,0]
// GFX11: v_min3_f16_e64_dpp v5.l, v1.l, v2.l, s3 quad_perm:[3,2,1,0] row_mask:0xf bank_mask:0xf ; encoding: [0x05,0x00,0x49,0xd6,0xfa,0x04,0x0e,0x00,0x01,0x1b,0x00,0xff]

v_min3_f16_e64_dpp v5.l, v1.l, v2.l, src_scc quad_perm:[3,2,1,0]
// GFX11: v_min3_f16_e64_dpp v5.l, v1.l, v2.l, src_scc quad_perm:[3,2,1,0] row_mask:0xf bank_mask:0xf ; encoding: [0x05,0x00,0x49,0xd6,0xfa,0x04,0xf6,0x03,0x01,0x1b,0x00,0xff]

v_min3_f16_e64_dpp v5.l, v1.l, v2.l, ttmp15 quad_perm:[3,2,1,0]
// GFX11: v_min3_f16_e64_dpp v5.l, v1.l, v2.l, ttmp15 quad_perm:[3,2,1,0] row_mask:0xf bank_mask:0xf ; encoding: [0x05,0x00,0x49,0xd6,0xfa,0x04,0xee,0x01,0x01,0x1b,0x00,0xff]

v_min3_f16_e64_dpp v5.l, v1.l, v2.l, v255.h quad_perm:[3,2,1,0]
// GFX11: v_min3_f16_e64_dpp v5.l, v1.l, v2.l, v255.h op_sel:[0,0,1,0] quad_perm:[3,2,1,0] row_mask:0xf bank_mask:0xf ; encoding: [0x05,0x20,0x49,0xd6,0xfa,0x04,0xfe,0x07,0x01,0x1b,0x00,0xff]

v_min3_f16_e64_dpp v5.l, v1.l, v2.l, v255.l quad_perm:[3,2,1,0]
// GFX11: v_min3_f16_e64_dpp v5.l, v1.l, v2.l, v255.l quad_perm:[3,2,1,0] row_mask:0xf bank_mask:0xf ; encoding: [0x05,0x00,0x49,0xd6,0xfa,0x04,0xfe,0x07,0x01,0x1b,0x00,0xff]

v_min3_f16_e64_dpp v5.l, v1.l, v2.l, v3.h quad_perm:[3,2,1,0]
// GFX11: v_min3_f16_e64_dpp v5.l, v1.l, v2.l, v3.h op_sel:[0,0,1,0] quad_perm:[3,2,1,0] row_mask:0xf bank_mask:0xf ; encoding: [0x05,0x20,0x49,0xd6,0xfa,0x04,0x0e,0x04,0x01,0x1b,0x00,0xff]

v_min3_f16_e64_dpp v5.l, v1.l, v2.l, vcc_hi quad_perm:[3,2,1,0]
// GFX11: v_min3_f16_e64_dpp v5.l, v1.l, v2.l, vcc_hi quad_perm:[3,2,1,0] row_mask:0xf bank_mask:0xf ; encoding: [0x05,0x00,0x49,0xd6,0xfa,0x04,0xae,0x01,0x01,0x1b,0x00,0xff]

v_min3_f16_e64_dpp v5.l, v1.l, v2.l, vcc_lo quad_perm:[3,2,1,0]
// GFX11: v_min3_f16_e64_dpp v5.l, v1.l, v2.l, vcc_lo quad_perm:[3,2,1,0] row_mask:0xf bank_mask:0xf ; encoding: [0x05,0x00,0x49,0xd6,0xfa,0x04,0xaa,0x01,0x01,0x1b,0x00,0xff]

v_min3_f16_e64_dpp v5.l, v1.l, v2.l, -|0.5| quad_perm:[3,2,1,0]
// GFX11: v_min3_f16_e64_dpp v5.l, v1.l, v2.l, -|0.5| quad_perm:[3,2,1,0] row_mask:0xf bank_mask:0xf ; encoding: [0x05,0x04,0x49,0xd6,0xfa,0x04,0xc2,0x83,0x01,0x1b,0x00,0xff]

v_min3_f16_e64_dpp v5.l, v1.h, v2.l, v3.l op_sel:[1,0,0,0] quad_perm:[3,2,1,0]
// GFX11: v_min3_f16_e64_dpp v5.l, v1.h, v2.l, v3.l op_sel:[1,0,0,0] quad_perm:[3,2,1,0] row_mask:0xf bank_mask:0xf ; encoding: [0x05,0x08,0x49,0xd6,0xfa,0x04,0x0e,0x04,0x01,0x1b,0x00,0xff]

v_min3_f16_e64_dpp v5.l, v1.l, v2.h, v3.l op_sel:[0,1,0,0] quad_perm:[3,2,1,0]
// GFX11: v_min3_f16_e64_dpp v5.l, v1.l, v2.h, v3.l op_sel:[0,1,0,0] quad_perm:[3,2,1,0] row_mask:0xf bank_mask:0xf ; encoding: [0x05,0x10,0x49,0xd6,0xfa,0x04,0x0e,0x04,0x01,0x1b,0x00,0xff]

v_min3_f16_e64_dpp v5.l, v1.l, v2.l, v3.h op_sel:[0,0,1,0] quad_perm:[3,2,1,0]
// GFX11: v_min3_f16_e64_dpp v5.l, v1.l, v2.l, v3.h op_sel:[0,0,1,0] quad_perm:[3,2,1,0] row_mask:0xf bank_mask:0xf ; encoding: [0x05,0x20,0x49,0xd6,0xfa,0x04,0x0e,0x04,0x01,0x1b,0x00,0xff]

v_min3_f16_e64_dpp v5.l, v1.l, v2.l, v3.l quad_perm:[3,2,1,0] bound_ctrl:0
// GFX11: v_min3_f16_e64_dpp v5.l, v1.l, v2.l, v3.l quad_perm:[3,2,1,0] row_mask:0xf bank_mask:0xf ; encoding: [0x05,0x00,0x49,0xd6,0xfa,0x04,0x0e,0x04,0x01,0x1b,0x00,0xff]

v_min3_f16_e64_dpp v5.l, v1.l, v2.l, v3.l quad_perm:[3,2,1,0] bound_ctrl:1
// GFX11: v_min3_f16_e64_dpp v5.l, v1.l, v2.l, v3.l quad_perm:[3,2,1,0] row_mask:0xf bank_mask:0xf bound_ctrl:1 ; encoding: [0x05,0x00,0x49,0xd6,0xfa,0x04,0x0e,0x04,0x01,0x1b,0x08,0xff]

v_min3_f16_e64_dpp v5.l, v1.l, v2.l, v3.l quad_perm:[0,1,2,3]
// GFX11: v_min3_f16_e64_dpp v5.l, v1.l, v2.l, v3.l quad_perm:[0,1,2,3] row_mask:0xf bank_mask:0xf ; encoding: [0x05,0x00,0x49,0xd6,0xfa,0x04,0x0e,0x04,0x01,0xe4,0x00,0xff]

v_min3_f16_e64_dpp v5.l, v1.l, v2.l, v3.l row_half_mirror
// GFX11: v_min3_f16_e64_dpp v5.l, v1.l, v2.l, v3.l row_half_mirror row_mask:0xf bank_mask:0xf ; encoding: [0x05,0x00,0x49,0xd6,0xfa,0x04,0x0e,0x04,0x01,0x41,0x01,0xff]

v_min3_f16_e64_dpp v5.l, v1.l, v2.l, v3.l row_mirror
// GFX11: v_min3_f16_e64_dpp v5.l, v1.l, v2.l, v3.l row_mirror row_mask:0xf bank_mask:0xf ; encoding: [0x05,0x00,0x49,0xd6,0xfa,0x04,0x0e,0x04,0x01,0x40,0x01,0xff]

v_min3_f16_e64_dpp v5.l, v1.l, v2.l, v3.l row_ror:1
// GFX11: v_min3_f16_e64_dpp v5.l, v1.l, v2.l, v3.l row_ror:1 row_mask:0xf bank_mask:0xf ; encoding: [0x05,0x00,0x49,0xd6,0xfa,0x04,0x0e,0x04,0x01,0x21,0x01,0xff]

v_min3_f16_e64_dpp v5.l, v1.l, v2.l, v3.l row_ror:15
// GFX11: v_min3_f16_e64_dpp v5.l, v1.l, v2.l, v3.l row_ror:15 row_mask:0xf bank_mask:0xf ; encoding: [0x05,0x00,0x49,0xd6,0xfa,0x04,0x0e,0x04,0x01,0x2f,0x01,0xff]

v_min3_f16_e64_dpp v5.l, v1.l, v2.l, v3.l row_share:0
// GFX11: v_min3_f16_e64_dpp v5.l, v1.l, v2.l, v3.l row_share:0 row_mask:0xf bank_mask:0xf ; encoding: [0x05,0x00,0x49,0xd6,0xfa,0x04,0x0e,0x04,0x01,0x50,0x01,0xff]

v_min3_f16_e64_dpp v5.l, v1.l, v2.l, v3.l row_share:15
// GFX11: v_min3_f16_e64_dpp v5.l, v1.l, v2.l, v3.l row_share:15 row_mask:0xf bank_mask:0xf ; encoding: [0x05,0x00,0x49,0xd6,0xfa,0x04,0x0e,0x04,0x01,0x5f,0x01,0xff]

v_min3_f16_e64_dpp v5.l, v1.l, v2.l, v3.l row_shl:1
// GFX11: v_min3_f16_e64_dpp v5.l, v1.l, v2.l, v3.l row_shl:1 row_mask:0xf bank_mask:0xf ; encoding: [0x05,0x00,0x49,0xd6,0xfa,0x04,0x0e,0x04,0x01,0x01,0x01,0xff]

v_min3_f16_e64_dpp v5.l, v1.l, v2.l, v3.l row_shl:15
// GFX11: v_min3_f16_e64_dpp v5.l, v1.l, v2.l, v3.l row_shl:15 row_mask:0xf bank_mask:0xf ; encoding: [0x05,0x00,0x49,0xd6,0xfa,0x04,0x0e,0x04,0x01,0x0f,0x01,0xff]

v_min3_f16_e64_dpp v5.l, v1.l, v2.l, v3.l row_shr:1
// GFX11: v_min3_f16_e64_dpp v5.l, v1.l, v2.l, v3.l row_shr:1 row_mask:0xf bank_mask:0xf ; encoding: [0x05,0x00,0x49,0xd6,0xfa,0x04,0x0e,0x04,0x01,0x11,0x01,0xff]

v_min3_f16_e64_dpp v5.l, v1.l, v2.l, v3.l row_shr:15
// GFX11: v_min3_f16_e64_dpp v5.l, v1.l, v2.l, v3.l row_shr:15 row_mask:0xf bank_mask:0xf ; encoding: [0x05,0x00,0x49,0xd6,0xfa,0x04,0x0e,0x04,0x01,0x1f,0x01,0xff]

v_min3_f16_e64_dpp v5.l, v1.l, v2.l, v3.l row_xmask:0
// GFX11: v_min3_f16_e64_dpp v5.l, v1.l, v2.l, v3.l row_xmask:0 row_mask:0xf bank_mask:0xf ; encoding: [0x05,0x00,0x49,0xd6,0xfa,0x04,0x0e,0x04,0x01,0x60,0x01,0xff]

v_min3_f16_e64_dpp v5.l, v1.l, v2.l, v3.l row_xmask:15
// GFX11: v_min3_f16_e64_dpp v5.l, v1.l, v2.l, v3.l row_xmask:15 row_mask:0xf bank_mask:0xf ; encoding: [0x05,0x00,0x49,0xd6,0xfa,0x04,0x0e,0x04,0x01,0x6f,0x01,0xff]

v_min3_f16_e64_dpp v5.l, v1.l, v2.l, v3.l quad_perm:[3,2,1,0] fi:0
// GFX11: v_min3_f16_e64_dpp v5.l, v1.l, v2.l, v3.l quad_perm:[3,2,1,0] row_mask:0xf bank_mask:0xf ; encoding: [0x05,0x00,0x49,0xd6,0xfa,0x04,0x0e,0x04,0x01,0x1b,0x00,0xff]

v_min3_f16_e64_dpp v5.l, v1.l, v2.l, v3.l quad_perm:[3,2,1,0] fi:1
// GFX11: v_min3_f16_e64_dpp v5.l, v1.l, v2.l, v3.l quad_perm:[3,2,1,0] row_mask:0xf bank_mask:0xf fi:1 ; encoding: [0x05,0x00,0x49,0xd6,0xfa,0x04,0x0e,0x04,0x01,0x1b,0x04,0xff]

v_min3_f16_e64_dpp v5.l, v1.l, v2.l, v3.l div:2 quad_perm:[3,2,1,0]
// GFX11: v_min3_f16_e64_dpp v5.l, v1.l, v2.l, v3.l div:2 quad_perm:[3,2,1,0] row_mask:0xf bank_mask:0xf ; encoding: [0x05,0x00,0x49,0xd6,0xfa,0x04,0x0e,0x1c,0x01,0x1b,0x00,0xff]

v_min3_f16_e64_dpp v5.l, v1.l, v2.l, v3.l mul:2 quad_perm:[3,2,1,0]
// GFX11: v_min3_f16_e64_dpp v5.l, v1.l, v2.l, v3.l mul:2 quad_perm:[3,2,1,0] row_mask:0xf bank_mask:0xf ; encoding: [0x05,0x00,0x49,0xd6,0xfa,0x04,0x0e,0x0c,0x01,0x1b,0x00,0xff]

v_min3_f16_e64_dpp v5.l, v1.l, v2.l, v3.l mul:4 quad_perm:[3,2,1,0]
// GFX11: v_min3_f16_e64_dpp v5.l, v1.l, v2.l, v3.l mul:4 quad_perm:[3,2,1,0] row_mask:0xf bank_mask:0xf ; encoding: [0x05,0x00,0x49,0xd6,0xfa,0x04,0x0e,0x14,0x01,0x1b,0x00,0xff]

v_min3_f16_e64_dpp v5.l, v1.l, v2.l, v3.l quad_perm:[3,2,1,0] row_mask:0x0 bank_mask:0x1
// GFX11: v_min3_f16_e64_dpp v5.l, v1.l, v2.l, v3.l quad_perm:[3,2,1,0] row_mask:0x0 bank_mask:0x1 ; encoding: [0x05,0x00,0x49,0xd6,0xfa,0x04,0x0e,0x04,0x01,0x1b,0x00,0x01]

v_min3_f16_e64_dpp v5.l, v1.l, v2.l, v3.l quad_perm:[3,2,1,0] row_mask:0x3 bank_mask:0x0
// GFX11: v_min3_f16_e64_dpp v5.l, v1.l, v2.l, v3.l quad_perm:[3,2,1,0] row_mask:0x3 bank_mask:0x0 ; encoding: [0x05,0x00,0x49,0xd6,0xfa,0x04,0x0e,0x04,0x01,0x1b,0x00,0x30]
	;; [unrolled: 3-line block ×3, first 2 shown]

v_min3_f16_e64_dpp v5.l, v1.l, v2.l, v3.l clamp quad_perm:[3,2,1,0]
// GFX11: v_min3_f16_e64_dpp v5.l, v1.l, v2.l, v3.l clamp quad_perm:[3,2,1,0] row_mask:0xf bank_mask:0xf ; encoding: [0x05,0x80,0x49,0xd6,0xfa,0x04,0x0e,0x04,0x01,0x1b,0x00,0xff]

v_min3_f32_e64_dpp v5, v1, v2, v3 quad_perm:[3,2,1,0]
// GFX11: v_min3_f32_e64_dpp v5, v1, v2, v3 quad_perm:[3,2,1,0] row_mask:0xf bank_mask:0xf ; encoding: [0x05,0x00,0x19,0xd6,0xfa,0x04,0x0e,0x04,0x01,0x1b,0x00,0xff]

v_min3_f32_e64_dpp v255, v255, v255, v255 quad_perm:[3,2,1,0]
// GFX11: v_min3_f32_e64_dpp v255, v255, v255, v255 quad_perm:[3,2,1,0] row_mask:0xf bank_mask:0xf ; encoding: [0xff,0x00,0x19,0xd6,0xfa,0xfe,0xff,0x07,0xff,0x1b,0x00,0xff]

v_min3_f32_e64_dpp v5, -v7, v2, v3 quad_perm:[3,2,1,0]
// GFX11: v_min3_f32_e64_dpp v5, -v7, v2, v3 quad_perm:[3,2,1,0] row_mask:0xf bank_mask:0xf ; encoding: [0x05,0x00,0x19,0xd6,0xfa,0x04,0x0e,0x24,0x07,0x1b,0x00,0xff]

v_min3_f32_e64_dpp v5, |v7|, v2, v3 quad_perm:[3,2,1,0]
// GFX11: v_min3_f32_e64_dpp v5, |v7|, v2, v3 quad_perm:[3,2,1,0] row_mask:0xf bank_mask:0xf ; encoding: [0x05,0x01,0x19,0xd6,0xfa,0x04,0x0e,0x04,0x07,0x1b,0x00,0xff]

v_min3_f32_e64_dpp v5, -|v7|, v2, v3 quad_perm:[3,2,1,0]
// GFX11: v_min3_f32_e64_dpp v5, -|v7|, v2, v3 quad_perm:[3,2,1,0] row_mask:0xf bank_mask:0xf ; encoding: [0x05,0x01,0x19,0xd6,0xfa,0x04,0x0e,0x24,0x07,0x1b,0x00,0xff]

v_min3_f32_e64_dpp v5, v1, -v7, v3 quad_perm:[3,2,1,0]
// GFX11: v_min3_f32_e64_dpp v5, v1, -v7, v3 quad_perm:[3,2,1,0] row_mask:0xf bank_mask:0xf ; encoding: [0x05,0x00,0x19,0xd6,0xfa,0x0e,0x0e,0x44,0x01,0x1b,0x00,0xff]

v_min3_f32_e64_dpp v5, v1, |v7|, v3 quad_perm:[3,2,1,0]
// GFX11: v_min3_f32_e64_dpp v5, v1, |v7|, v3 quad_perm:[3,2,1,0] row_mask:0xf bank_mask:0xf ; encoding: [0x05,0x02,0x19,0xd6,0xfa,0x0e,0x0e,0x04,0x01,0x1b,0x00,0xff]

v_min3_f32_e64_dpp v5, v1, -|v7|, v3 quad_perm:[3,2,1,0]
// GFX11: v_min3_f32_e64_dpp v5, v1, -|v7|, v3 quad_perm:[3,2,1,0] row_mask:0xf bank_mask:0xf ; encoding: [0x05,0x02,0x19,0xd6,0xfa,0x0e,0x0e,0x44,0x01,0x1b,0x00,0xff]

v_min3_f32_e64_dpp v5, v1, v2, -1 quad_perm:[3,2,1,0]
// GFX11: v_min3_f32_e64_dpp v5, v1, v2, -1 quad_perm:[3,2,1,0] row_mask:0xf bank_mask:0xf ; encoding: [0x05,0x00,0x19,0xd6,0xfa,0x04,0x06,0x03,0x01,0x1b,0x00,0xff]

v_min3_f32_e64_dpp v5, v1, v2, 0.5 quad_perm:[3,2,1,0]
// GFX11: v_min3_f32_e64_dpp v5, v1, v2, 0.5 quad_perm:[3,2,1,0] row_mask:0xf bank_mask:0xf ; encoding: [0x05,0x00,0x19,0xd6,0xfa,0x04,0xc2,0x03,0x01,0x1b,0x00,0xff]

v_min3_f32_e64_dpp v5, v1, v2, exec_hi quad_perm:[3,2,1,0]
// GFX11: v_min3_f32_e64_dpp v5, v1, v2, exec_hi quad_perm:[3,2,1,0] row_mask:0xf bank_mask:0xf ; encoding: [0x05,0x00,0x19,0xd6,0xfa,0x04,0xfe,0x01,0x01,0x1b,0x00,0xff]

v_min3_f32_e64_dpp v5, v1, v2, exec_lo quad_perm:[3,2,1,0]
// GFX11: v_min3_f32_e64_dpp v5, v1, v2, exec_lo quad_perm:[3,2,1,0] row_mask:0xf bank_mask:0xf ; encoding: [0x05,0x00,0x19,0xd6,0xfa,0x04,0xfa,0x01,0x01,0x1b,0x00,0xff]

v_min3_f32_e64_dpp v5, v1, v2, m0 quad_perm:[3,2,1,0]
// GFX11: v_min3_f32_e64_dpp v5, v1, v2, m0 quad_perm:[3,2,1,0] row_mask:0xf bank_mask:0xf ; encoding: [0x05,0x00,0x19,0xd6,0xfa,0x04,0xf6,0x01,0x01,0x1b,0x00,0xff]

v_min3_f32_e64_dpp v5, v1, v2, null quad_perm:[3,2,1,0]
// GFX11: v_min3_f32_e64_dpp v5, v1, v2, null quad_perm:[3,2,1,0] row_mask:0xf bank_mask:0xf ; encoding: [0x05,0x00,0x19,0xd6,0xfa,0x04,0xf2,0x01,0x01,0x1b,0x00,0xff]

v_min3_f32_e64_dpp v5, v1, v2, s105 quad_perm:[3,2,1,0]
// GFX11: v_min3_f32_e64_dpp v5, v1, v2, s105 quad_perm:[3,2,1,0] row_mask:0xf bank_mask:0xf ; encoding: [0x05,0x00,0x19,0xd6,0xfa,0x04,0xa6,0x01,0x01,0x1b,0x00,0xff]

v_min3_f32_e64_dpp v5, v1, v2, s3 quad_perm:[3,2,1,0]
// GFX11: v_min3_f32_e64_dpp v5, v1, v2, s3 quad_perm:[3,2,1,0] row_mask:0xf bank_mask:0xf ; encoding: [0x05,0x00,0x19,0xd6,0xfa,0x04,0x0e,0x00,0x01,0x1b,0x00,0xff]

v_min3_f32_e64_dpp v5, v1, v2, src_scc quad_perm:[3,2,1,0]
// GFX11: v_min3_f32_e64_dpp v5, v1, v2, src_scc quad_perm:[3,2,1,0] row_mask:0xf bank_mask:0xf ; encoding: [0x05,0x00,0x19,0xd6,0xfa,0x04,0xf6,0x03,0x01,0x1b,0x00,0xff]

v_min3_f32_e64_dpp v5, v1, v2, ttmp15 quad_perm:[3,2,1,0]
// GFX11: v_min3_f32_e64_dpp v5, v1, v2, ttmp15 quad_perm:[3,2,1,0] row_mask:0xf bank_mask:0xf ; encoding: [0x05,0x00,0x19,0xd6,0xfa,0x04,0xee,0x01,0x01,0x1b,0x00,0xff]

v_min3_f32_e64_dpp v5, v1, v2, v255 quad_perm:[3,2,1,0]
// GFX11: v_min3_f32_e64_dpp v5, v1, v2, v255 quad_perm:[3,2,1,0] row_mask:0xf bank_mask:0xf ; encoding: [0x05,0x00,0x19,0xd6,0xfa,0x04,0xfe,0x07,0x01,0x1b,0x00,0xff]

v_min3_f32_e64_dpp v5, v1, v2, vcc_hi quad_perm:[3,2,1,0]
// GFX11: v_min3_f32_e64_dpp v5, v1, v2, vcc_hi quad_perm:[3,2,1,0] row_mask:0xf bank_mask:0xf ; encoding: [0x05,0x00,0x19,0xd6,0xfa,0x04,0xae,0x01,0x01,0x1b,0x00,0xff]

v_min3_f32_e64_dpp v5, v1, v2, vcc_lo quad_perm:[3,2,1,0]
// GFX11: v_min3_f32_e64_dpp v5, v1, v2, vcc_lo quad_perm:[3,2,1,0] row_mask:0xf bank_mask:0xf ; encoding: [0x05,0x00,0x19,0xd6,0xfa,0x04,0xaa,0x01,0x01,0x1b,0x00,0xff]

v_min3_f32_e64_dpp v5, v1, v2, -|0.5| quad_perm:[3,2,1,0]
// GFX11: v_min3_f32_e64_dpp v5, v1, v2, -|0.5| quad_perm:[3,2,1,0] row_mask:0xf bank_mask:0xf ; encoding: [0x05,0x04,0x19,0xd6,0xfa,0x04,0xc2,0x83,0x01,0x1b,0x00,0xff]

v_min3_f32_e64_dpp v5, v1, v2, v3 quad_perm:[3,2,1,0] bound_ctrl:0
// GFX11: v_min3_f32_e64_dpp v5, v1, v2, v3 quad_perm:[3,2,1,0] row_mask:0xf bank_mask:0xf ; encoding: [0x05,0x00,0x19,0xd6,0xfa,0x04,0x0e,0x04,0x01,0x1b,0x00,0xff]

v_min3_f32_e64_dpp v5, v1, v2, v3 quad_perm:[3,2,1,0] bound_ctrl:1
// GFX11: v_min3_f32_e64_dpp v5, v1, v2, v3 quad_perm:[3,2,1,0] row_mask:0xf bank_mask:0xf bound_ctrl:1 ; encoding: [0x05,0x00,0x19,0xd6,0xfa,0x04,0x0e,0x04,0x01,0x1b,0x08,0xff]

v_min3_f32_e64_dpp v5, v1, v2, v3 quad_perm:[0,1,2,3]
// GFX11: v_min3_f32_e64_dpp v5, v1, v2, v3 quad_perm:[0,1,2,3] row_mask:0xf bank_mask:0xf ; encoding: [0x05,0x00,0x19,0xd6,0xfa,0x04,0x0e,0x04,0x01,0xe4,0x00,0xff]

v_min3_f32_e64_dpp v5, v1, v2, v3 row_half_mirror
// GFX11: v_min3_f32_e64_dpp v5, v1, v2, v3 row_half_mirror row_mask:0xf bank_mask:0xf ; encoding: [0x05,0x00,0x19,0xd6,0xfa,0x04,0x0e,0x04,0x01,0x41,0x01,0xff]

v_min3_f32_e64_dpp v5, v1, v2, v3 row_mirror
// GFX11: v_min3_f32_e64_dpp v5, v1, v2, v3 row_mirror row_mask:0xf bank_mask:0xf ; encoding: [0x05,0x00,0x19,0xd6,0xfa,0x04,0x0e,0x04,0x01,0x40,0x01,0xff]

v_min3_f32_e64_dpp v5, v1, v2, v3 row_ror:1
// GFX11: v_min3_f32_e64_dpp v5, v1, v2, v3 row_ror:1 row_mask:0xf bank_mask:0xf ; encoding: [0x05,0x00,0x19,0xd6,0xfa,0x04,0x0e,0x04,0x01,0x21,0x01,0xff]

v_min3_f32_e64_dpp v5, v1, v2, v3 row_ror:15
// GFX11: v_min3_f32_e64_dpp v5, v1, v2, v3 row_ror:15 row_mask:0xf bank_mask:0xf ; encoding: [0x05,0x00,0x19,0xd6,0xfa,0x04,0x0e,0x04,0x01,0x2f,0x01,0xff]

v_min3_f32_e64_dpp v5, v1, v2, v3 row_share:0
// GFX11: v_min3_f32_e64_dpp v5, v1, v2, v3 row_share:0 row_mask:0xf bank_mask:0xf ; encoding: [0x05,0x00,0x19,0xd6,0xfa,0x04,0x0e,0x04,0x01,0x50,0x01,0xff]

v_min3_f32_e64_dpp v5, v1, v2, v3 row_share:15
// GFX11: v_min3_f32_e64_dpp v5, v1, v2, v3 row_share:15 row_mask:0xf bank_mask:0xf ; encoding: [0x05,0x00,0x19,0xd6,0xfa,0x04,0x0e,0x04,0x01,0x5f,0x01,0xff]

v_min3_f32_e64_dpp v5, v1, v2, v3 row_shl:1
// GFX11: v_min3_f32_e64_dpp v5, v1, v2, v3 row_shl:1 row_mask:0xf bank_mask:0xf ; encoding: [0x05,0x00,0x19,0xd6,0xfa,0x04,0x0e,0x04,0x01,0x01,0x01,0xff]

v_min3_f32_e64_dpp v5, v1, v2, v3 row_shl:15
// GFX11: v_min3_f32_e64_dpp v5, v1, v2, v3 row_shl:15 row_mask:0xf bank_mask:0xf ; encoding: [0x05,0x00,0x19,0xd6,0xfa,0x04,0x0e,0x04,0x01,0x0f,0x01,0xff]

v_min3_f32_e64_dpp v5, v1, v2, v3 row_shr:1
// GFX11: v_min3_f32_e64_dpp v5, v1, v2, v3 row_shr:1 row_mask:0xf bank_mask:0xf ; encoding: [0x05,0x00,0x19,0xd6,0xfa,0x04,0x0e,0x04,0x01,0x11,0x01,0xff]

v_min3_f32_e64_dpp v5, v1, v2, v3 row_shr:15
// GFX11: v_min3_f32_e64_dpp v5, v1, v2, v3 row_shr:15 row_mask:0xf bank_mask:0xf ; encoding: [0x05,0x00,0x19,0xd6,0xfa,0x04,0x0e,0x04,0x01,0x1f,0x01,0xff]

v_min3_f32_e64_dpp v5, v1, v2, v3 row_xmask:0
// GFX11: v_min3_f32_e64_dpp v5, v1, v2, v3 row_xmask:0 row_mask:0xf bank_mask:0xf ; encoding: [0x05,0x00,0x19,0xd6,0xfa,0x04,0x0e,0x04,0x01,0x60,0x01,0xff]

v_min3_f32_e64_dpp v5, v1, v2, v3 row_xmask:15
// GFX11: v_min3_f32_e64_dpp v5, v1, v2, v3 row_xmask:15 row_mask:0xf bank_mask:0xf ; encoding: [0x05,0x00,0x19,0xd6,0xfa,0x04,0x0e,0x04,0x01,0x6f,0x01,0xff]

v_min3_f32_e64_dpp v5, v1, v2, v3 quad_perm:[3,2,1,0] fi:0
// GFX11: v_min3_f32_e64_dpp v5, v1, v2, v3 quad_perm:[3,2,1,0] row_mask:0xf bank_mask:0xf ; encoding: [0x05,0x00,0x19,0xd6,0xfa,0x04,0x0e,0x04,0x01,0x1b,0x00,0xff]

v_min3_f32_e64_dpp v5, v1, v2, v3 quad_perm:[3,2,1,0] fi:1
// GFX11: v_min3_f32_e64_dpp v5, v1, v2, v3 quad_perm:[3,2,1,0] row_mask:0xf bank_mask:0xf fi:1 ; encoding: [0x05,0x00,0x19,0xd6,0xfa,0x04,0x0e,0x04,0x01,0x1b,0x04,0xff]

v_min3_f32_e64_dpp v5, v1, v2, v3 div:2 quad_perm:[3,2,1,0]
// GFX11: v_min3_f32_e64_dpp v5, v1, v2, v3 div:2 quad_perm:[3,2,1,0] row_mask:0xf bank_mask:0xf ; encoding: [0x05,0x00,0x19,0xd6,0xfa,0x04,0x0e,0x1c,0x01,0x1b,0x00,0xff]

v_min3_f32_e64_dpp v5, v1, v2, v3 mul:2 quad_perm:[3,2,1,0]
// GFX11: v_min3_f32_e64_dpp v5, v1, v2, v3 mul:2 quad_perm:[3,2,1,0] row_mask:0xf bank_mask:0xf ; encoding: [0x05,0x00,0x19,0xd6,0xfa,0x04,0x0e,0x0c,0x01,0x1b,0x00,0xff]

v_min3_f32_e64_dpp v5, v1, v2, v3 mul:4 quad_perm:[3,2,1,0]
// GFX11: v_min3_f32_e64_dpp v5, v1, v2, v3 mul:4 quad_perm:[3,2,1,0] row_mask:0xf bank_mask:0xf ; encoding: [0x05,0x00,0x19,0xd6,0xfa,0x04,0x0e,0x14,0x01,0x1b,0x00,0xff]

v_min3_f32_e64_dpp v5, v1, v2, v3 quad_perm:[3,2,1,0] row_mask:0x0 bank_mask:0x1
// GFX11: v_min3_f32_e64_dpp v5, v1, v2, v3 quad_perm:[3,2,1,0] row_mask:0x0 bank_mask:0x1 ; encoding: [0x05,0x00,0x19,0xd6,0xfa,0x04,0x0e,0x04,0x01,0x1b,0x00,0x01]

v_min3_f32_e64_dpp v5, v1, v2, v3 quad_perm:[3,2,1,0] row_mask:0x3 bank_mask:0x0
// GFX11: v_min3_f32_e64_dpp v5, v1, v2, v3 quad_perm:[3,2,1,0] row_mask:0x3 bank_mask:0x0 ; encoding: [0x05,0x00,0x19,0xd6,0xfa,0x04,0x0e,0x04,0x01,0x1b,0x00,0x30]
	;; [unrolled: 3-line block ×3, first 2 shown]

v_min3_f32_e64_dpp v5, v1, v2, v3 clamp quad_perm:[3,2,1,0]
// GFX11: v_min3_f32_e64_dpp v5, v1, v2, v3 clamp quad_perm:[3,2,1,0] row_mask:0xf bank_mask:0xf ; encoding: [0x05,0x80,0x19,0xd6,0xfa,0x04,0x0e,0x04,0x01,0x1b,0x00,0xff]

v_min3_i16_e64_dpp v5.l, v1.l, v2.l, v3.l quad_perm:[3,2,1,0]
// GFX11: v_min3_i16_e64_dpp v5.l, v1.l, v2.l, v3.l quad_perm:[3,2,1,0] row_mask:0xf bank_mask:0xf ; encoding: [0x05,0x00,0x4a,0xd6,0xfa,0x04,0x0e,0x04,0x01,0x1b,0x00,0xff]

v_min3_i16_e64_dpp v255.l, v255.l, v255.l, v255.l quad_perm:[3,2,1,0]
// GFX11: v_min3_i16_e64_dpp v255.l, v255.l, v255.l, v255.l quad_perm:[3,2,1,0] row_mask:0xf bank_mask:0xf ; encoding: [0xff,0x00,0x4a,0xd6,0xfa,0xfe,0xff,0x07,0xff,0x1b,0x00,0xff]

v_min3_i16_e64_dpp v5.l, v1.l, v2.l, -1 quad_perm:[3,2,1,0]
// GFX11: v_min3_i16_e64_dpp v5.l, v1.l, v2.l, -1 quad_perm:[3,2,1,0] row_mask:0xf bank_mask:0xf ; encoding: [0x05,0x00,0x4a,0xd6,0xfa,0x04,0x06,0x03,0x01,0x1b,0x00,0xff]

v_min3_i16_e64_dpp v5.l, v1.l, v2.l, 0.5 quad_perm:[3,2,1,0]
// GFX11: v_min3_i16_e64_dpp v5.l, v1.l, v2.l, 0.5 quad_perm:[3,2,1,0] row_mask:0xf bank_mask:0xf ; encoding: [0x05,0x00,0x4a,0xd6,0xfa,0x04,0xc2,0x03,0x01,0x1b,0x00,0xff]

v_min3_i16_e64_dpp v5.l, v1.l, v2.l, exec_hi quad_perm:[3,2,1,0]
// GFX11: v_min3_i16_e64_dpp v5.l, v1.l, v2.l, exec_hi quad_perm:[3,2,1,0] row_mask:0xf bank_mask:0xf ; encoding: [0x05,0x00,0x4a,0xd6,0xfa,0x04,0xfe,0x01,0x01,0x1b,0x00,0xff]

v_min3_i16_e64_dpp v5.l, v1.l, v2.l, exec_lo quad_perm:[3,2,1,0]
// GFX11: v_min3_i16_e64_dpp v5.l, v1.l, v2.l, exec_lo quad_perm:[3,2,1,0] row_mask:0xf bank_mask:0xf ; encoding: [0x05,0x00,0x4a,0xd6,0xfa,0x04,0xfa,0x01,0x01,0x1b,0x00,0xff]

v_min3_i16_e64_dpp v5.l, v1.l, v2.l, m0 quad_perm:[3,2,1,0]
// GFX11: v_min3_i16_e64_dpp v5.l, v1.l, v2.l, m0 quad_perm:[3,2,1,0] row_mask:0xf bank_mask:0xf ; encoding: [0x05,0x00,0x4a,0xd6,0xfa,0x04,0xf6,0x01,0x01,0x1b,0x00,0xff]

v_min3_i16_e64_dpp v5.l, v1.l, v2.l, null quad_perm:[3,2,1,0]
// GFX11: v_min3_i16_e64_dpp v5.l, v1.l, v2.l, null quad_perm:[3,2,1,0] row_mask:0xf bank_mask:0xf ; encoding: [0x05,0x00,0x4a,0xd6,0xfa,0x04,0xf2,0x01,0x01,0x1b,0x00,0xff]

v_min3_i16_e64_dpp v5.l, v1.l, v2.l, s105 quad_perm:[3,2,1,0]
// GFX11: v_min3_i16_e64_dpp v5.l, v1.l, v2.l, s105 quad_perm:[3,2,1,0] row_mask:0xf bank_mask:0xf ; encoding: [0x05,0x00,0x4a,0xd6,0xfa,0x04,0xa6,0x01,0x01,0x1b,0x00,0xff]

v_min3_i16_e64_dpp v5.l, v1.l, v2.l, s3 quad_perm:[3,2,1,0]
// GFX11: v_min3_i16_e64_dpp v5.l, v1.l, v2.l, s3 quad_perm:[3,2,1,0] row_mask:0xf bank_mask:0xf ; encoding: [0x05,0x00,0x4a,0xd6,0xfa,0x04,0x0e,0x00,0x01,0x1b,0x00,0xff]

v_min3_i16_e64_dpp v5.l, v1.l, v2.l, src_scc quad_perm:[3,2,1,0]
// GFX11: v_min3_i16_e64_dpp v5.l, v1.l, v2.l, src_scc quad_perm:[3,2,1,0] row_mask:0xf bank_mask:0xf ; encoding: [0x05,0x00,0x4a,0xd6,0xfa,0x04,0xf6,0x03,0x01,0x1b,0x00,0xff]

v_min3_i16_e64_dpp v5.l, v1.l, v2.l, ttmp15 quad_perm:[3,2,1,0]
// GFX11: v_min3_i16_e64_dpp v5.l, v1.l, v2.l, ttmp15 quad_perm:[3,2,1,0] row_mask:0xf bank_mask:0xf ; encoding: [0x05,0x00,0x4a,0xd6,0xfa,0x04,0xee,0x01,0x01,0x1b,0x00,0xff]

v_min3_i16_e64_dpp v5.l, v1.l, v2.l, v255.h quad_perm:[3,2,1,0]
// GFX11: v_min3_i16_e64_dpp v5.l, v1.l, v2.l, v255.h op_sel:[0,0,1,0] quad_perm:[3,2,1,0] row_mask:0xf bank_mask:0xf ; encoding: [0x05,0x20,0x4a,0xd6,0xfa,0x04,0xfe,0x07,0x01,0x1b,0x00,0xff]

v_min3_i16_e64_dpp v5.l, v1.l, v2.l, v255.l quad_perm:[3,2,1,0]
// GFX11: v_min3_i16_e64_dpp v5.l, v1.l, v2.l, v255.l quad_perm:[3,2,1,0] row_mask:0xf bank_mask:0xf ; encoding: [0x05,0x00,0x4a,0xd6,0xfa,0x04,0xfe,0x07,0x01,0x1b,0x00,0xff]

v_min3_i16_e64_dpp v5.l, v1.l, v2.l, v3.h quad_perm:[3,2,1,0]
// GFX11: v_min3_i16_e64_dpp v5.l, v1.l, v2.l, v3.h op_sel:[0,0,1,0] quad_perm:[3,2,1,0] row_mask:0xf bank_mask:0xf ; encoding: [0x05,0x20,0x4a,0xd6,0xfa,0x04,0x0e,0x04,0x01,0x1b,0x00,0xff]

v_min3_i16_e64_dpp v5.l, v1.l, v2.l, vcc_hi quad_perm:[3,2,1,0]
// GFX11: v_min3_i16_e64_dpp v5.l, v1.l, v2.l, vcc_hi quad_perm:[3,2,1,0] row_mask:0xf bank_mask:0xf ; encoding: [0x05,0x00,0x4a,0xd6,0xfa,0x04,0xae,0x01,0x01,0x1b,0x00,0xff]

v_min3_i16_e64_dpp v5.l, v1.l, v2.l, vcc_lo quad_perm:[3,2,1,0]
// GFX11: v_min3_i16_e64_dpp v5.l, v1.l, v2.l, vcc_lo quad_perm:[3,2,1,0] row_mask:0xf bank_mask:0xf ; encoding: [0x05,0x00,0x4a,0xd6,0xfa,0x04,0xaa,0x01,0x01,0x1b,0x00,0xff]

v_min3_i16_e64_dpp v5.l, v1.h, v2.l, v3.l op_sel:[1,0,0,0] quad_perm:[3,2,1,0]
// GFX11: v_min3_i16_e64_dpp v5.l, v1.h, v2.l, v3.l op_sel:[1,0,0,0] quad_perm:[3,2,1,0] row_mask:0xf bank_mask:0xf ; encoding: [0x05,0x08,0x4a,0xd6,0xfa,0x04,0x0e,0x04,0x01,0x1b,0x00,0xff]

v_min3_i16_e64_dpp v5.l, v1.l, v2.h, v3.l op_sel:[0,1,0,0] quad_perm:[3,2,1,0]
// GFX11: v_min3_i16_e64_dpp v5.l, v1.l, v2.h, v3.l op_sel:[0,1,0,0] quad_perm:[3,2,1,0] row_mask:0xf bank_mask:0xf ; encoding: [0x05,0x10,0x4a,0xd6,0xfa,0x04,0x0e,0x04,0x01,0x1b,0x00,0xff]

v_min3_i16_e64_dpp v5.l, v1.l, v2.l, v3.h op_sel:[0,0,1,0] quad_perm:[3,2,1,0]
// GFX11: v_min3_i16_e64_dpp v5.l, v1.l, v2.l, v3.h op_sel:[0,0,1,0] quad_perm:[3,2,1,0] row_mask:0xf bank_mask:0xf ; encoding: [0x05,0x20,0x4a,0xd6,0xfa,0x04,0x0e,0x04,0x01,0x1b,0x00,0xff]

v_min3_i16_e64_dpp v5.l, v1.l, v2.l, v3.l quad_perm:[3,2,1,0] bound_ctrl:0
// GFX11: v_min3_i16_e64_dpp v5.l, v1.l, v2.l, v3.l quad_perm:[3,2,1,0] row_mask:0xf bank_mask:0xf ; encoding: [0x05,0x00,0x4a,0xd6,0xfa,0x04,0x0e,0x04,0x01,0x1b,0x00,0xff]

v_min3_i16_e64_dpp v5.l, v1.l, v2.l, v3.l quad_perm:[3,2,1,0] bound_ctrl:1
// GFX11: v_min3_i16_e64_dpp v5.l, v1.l, v2.l, v3.l quad_perm:[3,2,1,0] row_mask:0xf bank_mask:0xf bound_ctrl:1 ; encoding: [0x05,0x00,0x4a,0xd6,0xfa,0x04,0x0e,0x04,0x01,0x1b,0x08,0xff]

v_min3_i16_e64_dpp v5.l, v1.l, v2.l, v3.l quad_perm:[0,1,2,3]
// GFX11: v_min3_i16_e64_dpp v5.l, v1.l, v2.l, v3.l quad_perm:[0,1,2,3] row_mask:0xf bank_mask:0xf ; encoding: [0x05,0x00,0x4a,0xd6,0xfa,0x04,0x0e,0x04,0x01,0xe4,0x00,0xff]

v_min3_i16_e64_dpp v5.l, v1.l, v2.l, v3.l row_half_mirror
// GFX11: v_min3_i16_e64_dpp v5.l, v1.l, v2.l, v3.l row_half_mirror row_mask:0xf bank_mask:0xf ; encoding: [0x05,0x00,0x4a,0xd6,0xfa,0x04,0x0e,0x04,0x01,0x41,0x01,0xff]

v_min3_i16_e64_dpp v5.l, v1.l, v2.l, v3.l row_mirror
// GFX11: v_min3_i16_e64_dpp v5.l, v1.l, v2.l, v3.l row_mirror row_mask:0xf bank_mask:0xf ; encoding: [0x05,0x00,0x4a,0xd6,0xfa,0x04,0x0e,0x04,0x01,0x40,0x01,0xff]

v_min3_i16_e64_dpp v5.l, v1.l, v2.l, v3.l row_ror:1
// GFX11: v_min3_i16_e64_dpp v5.l, v1.l, v2.l, v3.l row_ror:1 row_mask:0xf bank_mask:0xf ; encoding: [0x05,0x00,0x4a,0xd6,0xfa,0x04,0x0e,0x04,0x01,0x21,0x01,0xff]

v_min3_i16_e64_dpp v5.l, v1.l, v2.l, v3.l row_ror:15
// GFX11: v_min3_i16_e64_dpp v5.l, v1.l, v2.l, v3.l row_ror:15 row_mask:0xf bank_mask:0xf ; encoding: [0x05,0x00,0x4a,0xd6,0xfa,0x04,0x0e,0x04,0x01,0x2f,0x01,0xff]

v_min3_i16_e64_dpp v5.l, v1.l, v2.l, v3.l row_share:0
// GFX11: v_min3_i16_e64_dpp v5.l, v1.l, v2.l, v3.l row_share:0 row_mask:0xf bank_mask:0xf ; encoding: [0x05,0x00,0x4a,0xd6,0xfa,0x04,0x0e,0x04,0x01,0x50,0x01,0xff]

v_min3_i16_e64_dpp v5.l, v1.l, v2.l, v3.l row_share:15
// GFX11: v_min3_i16_e64_dpp v5.l, v1.l, v2.l, v3.l row_share:15 row_mask:0xf bank_mask:0xf ; encoding: [0x05,0x00,0x4a,0xd6,0xfa,0x04,0x0e,0x04,0x01,0x5f,0x01,0xff]

v_min3_i16_e64_dpp v5.l, v1.l, v2.l, v3.l row_shl:1
// GFX11: v_min3_i16_e64_dpp v5.l, v1.l, v2.l, v3.l row_shl:1 row_mask:0xf bank_mask:0xf ; encoding: [0x05,0x00,0x4a,0xd6,0xfa,0x04,0x0e,0x04,0x01,0x01,0x01,0xff]

v_min3_i16_e64_dpp v5.l, v1.l, v2.l, v3.l row_shl:15
// GFX11: v_min3_i16_e64_dpp v5.l, v1.l, v2.l, v3.l row_shl:15 row_mask:0xf bank_mask:0xf ; encoding: [0x05,0x00,0x4a,0xd6,0xfa,0x04,0x0e,0x04,0x01,0x0f,0x01,0xff]

v_min3_i16_e64_dpp v5.l, v1.l, v2.l, v3.l row_shr:1
// GFX11: v_min3_i16_e64_dpp v5.l, v1.l, v2.l, v3.l row_shr:1 row_mask:0xf bank_mask:0xf ; encoding: [0x05,0x00,0x4a,0xd6,0xfa,0x04,0x0e,0x04,0x01,0x11,0x01,0xff]

v_min3_i16_e64_dpp v5.l, v1.l, v2.l, v3.l row_shr:15
// GFX11: v_min3_i16_e64_dpp v5.l, v1.l, v2.l, v3.l row_shr:15 row_mask:0xf bank_mask:0xf ; encoding: [0x05,0x00,0x4a,0xd6,0xfa,0x04,0x0e,0x04,0x01,0x1f,0x01,0xff]

v_min3_i16_e64_dpp v5.l, v1.l, v2.l, v3.l row_xmask:0
// GFX11: v_min3_i16_e64_dpp v5.l, v1.l, v2.l, v3.l row_xmask:0 row_mask:0xf bank_mask:0xf ; encoding: [0x05,0x00,0x4a,0xd6,0xfa,0x04,0x0e,0x04,0x01,0x60,0x01,0xff]

v_min3_i16_e64_dpp v5.l, v1.l, v2.l, v3.l row_xmask:15
// GFX11: v_min3_i16_e64_dpp v5.l, v1.l, v2.l, v3.l row_xmask:15 row_mask:0xf bank_mask:0xf ; encoding: [0x05,0x00,0x4a,0xd6,0xfa,0x04,0x0e,0x04,0x01,0x6f,0x01,0xff]

v_min3_i16_e64_dpp v5.l, v1.l, v2.l, v3.l quad_perm:[3,2,1,0] fi:0
// GFX11: v_min3_i16_e64_dpp v5.l, v1.l, v2.l, v3.l quad_perm:[3,2,1,0] row_mask:0xf bank_mask:0xf ; encoding: [0x05,0x00,0x4a,0xd6,0xfa,0x04,0x0e,0x04,0x01,0x1b,0x00,0xff]

v_min3_i16_e64_dpp v5.l, v1.l, v2.l, v3.l quad_perm:[3,2,1,0] fi:1
// GFX11: v_min3_i16_e64_dpp v5.l, v1.l, v2.l, v3.l quad_perm:[3,2,1,0] row_mask:0xf bank_mask:0xf fi:1 ; encoding: [0x05,0x00,0x4a,0xd6,0xfa,0x04,0x0e,0x04,0x01,0x1b,0x04,0xff]

v_min3_i16_e64_dpp v5.l, v1.l, v2.l, v3.l quad_perm:[3,2,1,0] row_mask:0x0 bank_mask:0x1
// GFX11: v_min3_i16_e64_dpp v5.l, v1.l, v2.l, v3.l quad_perm:[3,2,1,0] row_mask:0x0 bank_mask:0x1 ; encoding: [0x05,0x00,0x4a,0xd6,0xfa,0x04,0x0e,0x04,0x01,0x1b,0x00,0x01]

v_min3_i16_e64_dpp v5.l, v1.l, v2.l, v3.l quad_perm:[3,2,1,0] row_mask:0x3 bank_mask:0x0
// GFX11: v_min3_i16_e64_dpp v5.l, v1.l, v2.l, v3.l quad_perm:[3,2,1,0] row_mask:0x3 bank_mask:0x0 ; encoding: [0x05,0x00,0x4a,0xd6,0xfa,0x04,0x0e,0x04,0x01,0x1b,0x00,0x30]
	;; [unrolled: 3-line block ×3, first 2 shown]

v_min3_i32_e64_dpp v5, v1, v2, v3 quad_perm:[3,2,1,0]
// GFX11: v_min3_i32_e64_dpp v5, v1, v2, v3 quad_perm:[3,2,1,0] row_mask:0xf bank_mask:0xf ; encoding: [0x05,0x00,0x1a,0xd6,0xfa,0x04,0x0e,0x04,0x01,0x1b,0x00,0xff]

v_min3_i32_e64_dpp v255, v255, v255, v255 quad_perm:[3,2,1,0]
// GFX11: v_min3_i32_e64_dpp v255, v255, v255, v255 quad_perm:[3,2,1,0] row_mask:0xf bank_mask:0xf ; encoding: [0xff,0x00,0x1a,0xd6,0xfa,0xfe,0xff,0x07,0xff,0x1b,0x00,0xff]

v_min3_i32_e64_dpp v5, v1, v2, -1 quad_perm:[3,2,1,0]
// GFX11: v_min3_i32_e64_dpp v5, v1, v2, -1 quad_perm:[3,2,1,0] row_mask:0xf bank_mask:0xf ; encoding: [0x05,0x00,0x1a,0xd6,0xfa,0x04,0x06,0x03,0x01,0x1b,0x00,0xff]

v_min3_i32_e64_dpp v5, v1, v2, 0.5 quad_perm:[3,2,1,0]
// GFX11: v_min3_i32_e64_dpp v5, v1, v2, 0.5 quad_perm:[3,2,1,0] row_mask:0xf bank_mask:0xf ; encoding: [0x05,0x00,0x1a,0xd6,0xfa,0x04,0xc2,0x03,0x01,0x1b,0x00,0xff]

v_min3_i32_e64_dpp v5, v1, v2, exec_hi quad_perm:[3,2,1,0]
// GFX11: v_min3_i32_e64_dpp v5, v1, v2, exec_hi quad_perm:[3,2,1,0] row_mask:0xf bank_mask:0xf ; encoding: [0x05,0x00,0x1a,0xd6,0xfa,0x04,0xfe,0x01,0x01,0x1b,0x00,0xff]

v_min3_i32_e64_dpp v5, v1, v2, exec_lo quad_perm:[3,2,1,0]
// GFX11: v_min3_i32_e64_dpp v5, v1, v2, exec_lo quad_perm:[3,2,1,0] row_mask:0xf bank_mask:0xf ; encoding: [0x05,0x00,0x1a,0xd6,0xfa,0x04,0xfa,0x01,0x01,0x1b,0x00,0xff]

v_min3_i32_e64_dpp v5, v1, v2, m0 quad_perm:[3,2,1,0]
// GFX11: v_min3_i32_e64_dpp v5, v1, v2, m0 quad_perm:[3,2,1,0] row_mask:0xf bank_mask:0xf ; encoding: [0x05,0x00,0x1a,0xd6,0xfa,0x04,0xf6,0x01,0x01,0x1b,0x00,0xff]

v_min3_i32_e64_dpp v5, v1, v2, null quad_perm:[3,2,1,0]
// GFX11: v_min3_i32_e64_dpp v5, v1, v2, null quad_perm:[3,2,1,0] row_mask:0xf bank_mask:0xf ; encoding: [0x05,0x00,0x1a,0xd6,0xfa,0x04,0xf2,0x01,0x01,0x1b,0x00,0xff]

v_min3_i32_e64_dpp v5, v1, v2, s105 quad_perm:[3,2,1,0]
// GFX11: v_min3_i32_e64_dpp v5, v1, v2, s105 quad_perm:[3,2,1,0] row_mask:0xf bank_mask:0xf ; encoding: [0x05,0x00,0x1a,0xd6,0xfa,0x04,0xa6,0x01,0x01,0x1b,0x00,0xff]

v_min3_i32_e64_dpp v5, v1, v2, s3 quad_perm:[3,2,1,0]
// GFX11: v_min3_i32_e64_dpp v5, v1, v2, s3 quad_perm:[3,2,1,0] row_mask:0xf bank_mask:0xf ; encoding: [0x05,0x00,0x1a,0xd6,0xfa,0x04,0x0e,0x00,0x01,0x1b,0x00,0xff]

v_min3_i32_e64_dpp v5, v1, v2, src_scc quad_perm:[3,2,1,0]
// GFX11: v_min3_i32_e64_dpp v5, v1, v2, src_scc quad_perm:[3,2,1,0] row_mask:0xf bank_mask:0xf ; encoding: [0x05,0x00,0x1a,0xd6,0xfa,0x04,0xf6,0x03,0x01,0x1b,0x00,0xff]

v_min3_i32_e64_dpp v5, v1, v2, ttmp15 quad_perm:[3,2,1,0]
// GFX11: v_min3_i32_e64_dpp v5, v1, v2, ttmp15 quad_perm:[3,2,1,0] row_mask:0xf bank_mask:0xf ; encoding: [0x05,0x00,0x1a,0xd6,0xfa,0x04,0xee,0x01,0x01,0x1b,0x00,0xff]

v_min3_i32_e64_dpp v5, v1, v2, v255 quad_perm:[3,2,1,0]
// GFX11: v_min3_i32_e64_dpp v5, v1, v2, v255 quad_perm:[3,2,1,0] row_mask:0xf bank_mask:0xf ; encoding: [0x05,0x00,0x1a,0xd6,0xfa,0x04,0xfe,0x07,0x01,0x1b,0x00,0xff]

v_min3_i32_e64_dpp v5, v1, v2, vcc_hi quad_perm:[3,2,1,0]
// GFX11: v_min3_i32_e64_dpp v5, v1, v2, vcc_hi quad_perm:[3,2,1,0] row_mask:0xf bank_mask:0xf ; encoding: [0x05,0x00,0x1a,0xd6,0xfa,0x04,0xae,0x01,0x01,0x1b,0x00,0xff]

v_min3_i32_e64_dpp v5, v1, v2, vcc_lo quad_perm:[3,2,1,0]
// GFX11: v_min3_i32_e64_dpp v5, v1, v2, vcc_lo quad_perm:[3,2,1,0] row_mask:0xf bank_mask:0xf ; encoding: [0x05,0x00,0x1a,0xd6,0xfa,0x04,0xaa,0x01,0x01,0x1b,0x00,0xff]

v_min3_i32_e64_dpp v5, v1, v2, v3 quad_perm:[3,2,1,0] bound_ctrl:0
// GFX11: v_min3_i32_e64_dpp v5, v1, v2, v3 quad_perm:[3,2,1,0] row_mask:0xf bank_mask:0xf ; encoding: [0x05,0x00,0x1a,0xd6,0xfa,0x04,0x0e,0x04,0x01,0x1b,0x00,0xff]

v_min3_i32_e64_dpp v5, v1, v2, v3 quad_perm:[3,2,1,0] bound_ctrl:1
// GFX11: v_min3_i32_e64_dpp v5, v1, v2, v3 quad_perm:[3,2,1,0] row_mask:0xf bank_mask:0xf bound_ctrl:1 ; encoding: [0x05,0x00,0x1a,0xd6,0xfa,0x04,0x0e,0x04,0x01,0x1b,0x08,0xff]

v_min3_i32_e64_dpp v5, v1, v2, v3 quad_perm:[0,1,2,3]
// GFX11: v_min3_i32_e64_dpp v5, v1, v2, v3 quad_perm:[0,1,2,3] row_mask:0xf bank_mask:0xf ; encoding: [0x05,0x00,0x1a,0xd6,0xfa,0x04,0x0e,0x04,0x01,0xe4,0x00,0xff]

v_min3_i32_e64_dpp v5, v1, v2, v3 row_half_mirror
// GFX11: v_min3_i32_e64_dpp v5, v1, v2, v3 row_half_mirror row_mask:0xf bank_mask:0xf ; encoding: [0x05,0x00,0x1a,0xd6,0xfa,0x04,0x0e,0x04,0x01,0x41,0x01,0xff]

v_min3_i32_e64_dpp v5, v1, v2, v3 row_mirror
// GFX11: v_min3_i32_e64_dpp v5, v1, v2, v3 row_mirror row_mask:0xf bank_mask:0xf ; encoding: [0x05,0x00,0x1a,0xd6,0xfa,0x04,0x0e,0x04,0x01,0x40,0x01,0xff]

v_min3_i32_e64_dpp v5, v1, v2, v3 row_ror:1
// GFX11: v_min3_i32_e64_dpp v5, v1, v2, v3 row_ror:1 row_mask:0xf bank_mask:0xf ; encoding: [0x05,0x00,0x1a,0xd6,0xfa,0x04,0x0e,0x04,0x01,0x21,0x01,0xff]

v_min3_i32_e64_dpp v5, v1, v2, v3 row_ror:15
// GFX11: v_min3_i32_e64_dpp v5, v1, v2, v3 row_ror:15 row_mask:0xf bank_mask:0xf ; encoding: [0x05,0x00,0x1a,0xd6,0xfa,0x04,0x0e,0x04,0x01,0x2f,0x01,0xff]

v_min3_i32_e64_dpp v5, v1, v2, v3 row_share:0
// GFX11: v_min3_i32_e64_dpp v5, v1, v2, v3 row_share:0 row_mask:0xf bank_mask:0xf ; encoding: [0x05,0x00,0x1a,0xd6,0xfa,0x04,0x0e,0x04,0x01,0x50,0x01,0xff]

v_min3_i32_e64_dpp v5, v1, v2, v3 row_share:15
// GFX11: v_min3_i32_e64_dpp v5, v1, v2, v3 row_share:15 row_mask:0xf bank_mask:0xf ; encoding: [0x05,0x00,0x1a,0xd6,0xfa,0x04,0x0e,0x04,0x01,0x5f,0x01,0xff]

v_min3_i32_e64_dpp v5, v1, v2, v3 row_shl:1
// GFX11: v_min3_i32_e64_dpp v5, v1, v2, v3 row_shl:1 row_mask:0xf bank_mask:0xf ; encoding: [0x05,0x00,0x1a,0xd6,0xfa,0x04,0x0e,0x04,0x01,0x01,0x01,0xff]

v_min3_i32_e64_dpp v5, v1, v2, v3 row_shl:15
// GFX11: v_min3_i32_e64_dpp v5, v1, v2, v3 row_shl:15 row_mask:0xf bank_mask:0xf ; encoding: [0x05,0x00,0x1a,0xd6,0xfa,0x04,0x0e,0x04,0x01,0x0f,0x01,0xff]

v_min3_i32_e64_dpp v5, v1, v2, v3 row_shr:1
// GFX11: v_min3_i32_e64_dpp v5, v1, v2, v3 row_shr:1 row_mask:0xf bank_mask:0xf ; encoding: [0x05,0x00,0x1a,0xd6,0xfa,0x04,0x0e,0x04,0x01,0x11,0x01,0xff]

v_min3_i32_e64_dpp v5, v1, v2, v3 row_shr:15
// GFX11: v_min3_i32_e64_dpp v5, v1, v2, v3 row_shr:15 row_mask:0xf bank_mask:0xf ; encoding: [0x05,0x00,0x1a,0xd6,0xfa,0x04,0x0e,0x04,0x01,0x1f,0x01,0xff]

v_min3_i32_e64_dpp v5, v1, v2, v3 row_xmask:0
// GFX11: v_min3_i32_e64_dpp v5, v1, v2, v3 row_xmask:0 row_mask:0xf bank_mask:0xf ; encoding: [0x05,0x00,0x1a,0xd6,0xfa,0x04,0x0e,0x04,0x01,0x60,0x01,0xff]

v_min3_i32_e64_dpp v5, v1, v2, v3 row_xmask:15
// GFX11: v_min3_i32_e64_dpp v5, v1, v2, v3 row_xmask:15 row_mask:0xf bank_mask:0xf ; encoding: [0x05,0x00,0x1a,0xd6,0xfa,0x04,0x0e,0x04,0x01,0x6f,0x01,0xff]

v_min3_i32_e64_dpp v5, v1, v2, v3 quad_perm:[3,2,1,0] fi:0
// GFX11: v_min3_i32_e64_dpp v5, v1, v2, v3 quad_perm:[3,2,1,0] row_mask:0xf bank_mask:0xf ; encoding: [0x05,0x00,0x1a,0xd6,0xfa,0x04,0x0e,0x04,0x01,0x1b,0x00,0xff]

v_min3_i32_e64_dpp v5, v1, v2, v3 quad_perm:[3,2,1,0] fi:1
// GFX11: v_min3_i32_e64_dpp v5, v1, v2, v3 quad_perm:[3,2,1,0] row_mask:0xf bank_mask:0xf fi:1 ; encoding: [0x05,0x00,0x1a,0xd6,0xfa,0x04,0x0e,0x04,0x01,0x1b,0x04,0xff]

v_min3_i32_e64_dpp v5, v1, v2, v3 quad_perm:[3,2,1,0] row_mask:0x0 bank_mask:0x1
// GFX11: v_min3_i32_e64_dpp v5, v1, v2, v3 quad_perm:[3,2,1,0] row_mask:0x0 bank_mask:0x1 ; encoding: [0x05,0x00,0x1a,0xd6,0xfa,0x04,0x0e,0x04,0x01,0x1b,0x00,0x01]

v_min3_i32_e64_dpp v5, v1, v2, v3 quad_perm:[3,2,1,0] row_mask:0x3 bank_mask:0x0
// GFX11: v_min3_i32_e64_dpp v5, v1, v2, v3 quad_perm:[3,2,1,0] row_mask:0x3 bank_mask:0x0 ; encoding: [0x05,0x00,0x1a,0xd6,0xfa,0x04,0x0e,0x04,0x01,0x1b,0x00,0x30]
	;; [unrolled: 3-line block ×3, first 2 shown]

v_min3_u16_e64_dpp v5.l, v1.l, v2.l, v3.l quad_perm:[3,2,1,0]
// GFX11: v_min3_u16_e64_dpp v5.l, v1.l, v2.l, v3.l quad_perm:[3,2,1,0] row_mask:0xf bank_mask:0xf ; encoding: [0x05,0x00,0x4b,0xd6,0xfa,0x04,0x0e,0x04,0x01,0x1b,0x00,0xff]

v_min3_u16_e64_dpp v255.l, v255.l, v255.l, v255.l quad_perm:[3,2,1,0]
// GFX11: v_min3_u16_e64_dpp v255.l, v255.l, v255.l, v255.l quad_perm:[3,2,1,0] row_mask:0xf bank_mask:0xf ; encoding: [0xff,0x00,0x4b,0xd6,0xfa,0xfe,0xff,0x07,0xff,0x1b,0x00,0xff]

v_min3_u16_e64_dpp v5.l, v1.l, v2.l, -1 quad_perm:[3,2,1,0]
// GFX11: v_min3_u16_e64_dpp v5.l, v1.l, v2.l, -1 quad_perm:[3,2,1,0] row_mask:0xf bank_mask:0xf ; encoding: [0x05,0x00,0x4b,0xd6,0xfa,0x04,0x06,0x03,0x01,0x1b,0x00,0xff]

v_min3_u16_e64_dpp v5.l, v1.l, v2.l, 0.5 quad_perm:[3,2,1,0]
// GFX11: v_min3_u16_e64_dpp v5.l, v1.l, v2.l, 0.5 quad_perm:[3,2,1,0] row_mask:0xf bank_mask:0xf ; encoding: [0x05,0x00,0x4b,0xd6,0xfa,0x04,0xc2,0x03,0x01,0x1b,0x00,0xff]

v_min3_u16_e64_dpp v5.l, v1.l, v2.l, exec_hi quad_perm:[3,2,1,0]
// GFX11: v_min3_u16_e64_dpp v5.l, v1.l, v2.l, exec_hi quad_perm:[3,2,1,0] row_mask:0xf bank_mask:0xf ; encoding: [0x05,0x00,0x4b,0xd6,0xfa,0x04,0xfe,0x01,0x01,0x1b,0x00,0xff]

v_min3_u16_e64_dpp v5.l, v1.l, v2.l, exec_lo quad_perm:[3,2,1,0]
// GFX11: v_min3_u16_e64_dpp v5.l, v1.l, v2.l, exec_lo quad_perm:[3,2,1,0] row_mask:0xf bank_mask:0xf ; encoding: [0x05,0x00,0x4b,0xd6,0xfa,0x04,0xfa,0x01,0x01,0x1b,0x00,0xff]

v_min3_u16_e64_dpp v5.l, v1.l, v2.l, m0 quad_perm:[3,2,1,0]
// GFX11: v_min3_u16_e64_dpp v5.l, v1.l, v2.l, m0 quad_perm:[3,2,1,0] row_mask:0xf bank_mask:0xf ; encoding: [0x05,0x00,0x4b,0xd6,0xfa,0x04,0xf6,0x01,0x01,0x1b,0x00,0xff]

v_min3_u16_e64_dpp v5.l, v1.l, v2.l, null quad_perm:[3,2,1,0]
// GFX11: v_min3_u16_e64_dpp v5.l, v1.l, v2.l, null quad_perm:[3,2,1,0] row_mask:0xf bank_mask:0xf ; encoding: [0x05,0x00,0x4b,0xd6,0xfa,0x04,0xf2,0x01,0x01,0x1b,0x00,0xff]

v_min3_u16_e64_dpp v5.l, v1.l, v2.l, s105 quad_perm:[3,2,1,0]
// GFX11: v_min3_u16_e64_dpp v5.l, v1.l, v2.l, s105 quad_perm:[3,2,1,0] row_mask:0xf bank_mask:0xf ; encoding: [0x05,0x00,0x4b,0xd6,0xfa,0x04,0xa6,0x01,0x01,0x1b,0x00,0xff]

v_min3_u16_e64_dpp v5.l, v1.l, v2.l, s3 quad_perm:[3,2,1,0]
// GFX11: v_min3_u16_e64_dpp v5.l, v1.l, v2.l, s3 quad_perm:[3,2,1,0] row_mask:0xf bank_mask:0xf ; encoding: [0x05,0x00,0x4b,0xd6,0xfa,0x04,0x0e,0x00,0x01,0x1b,0x00,0xff]

v_min3_u16_e64_dpp v5.l, v1.l, v2.l, src_scc quad_perm:[3,2,1,0]
// GFX11: v_min3_u16_e64_dpp v5.l, v1.l, v2.l, src_scc quad_perm:[3,2,1,0] row_mask:0xf bank_mask:0xf ; encoding: [0x05,0x00,0x4b,0xd6,0xfa,0x04,0xf6,0x03,0x01,0x1b,0x00,0xff]

v_min3_u16_e64_dpp v5.l, v1.l, v2.l, ttmp15 quad_perm:[3,2,1,0]
// GFX11: v_min3_u16_e64_dpp v5.l, v1.l, v2.l, ttmp15 quad_perm:[3,2,1,0] row_mask:0xf bank_mask:0xf ; encoding: [0x05,0x00,0x4b,0xd6,0xfa,0x04,0xee,0x01,0x01,0x1b,0x00,0xff]

v_min3_u16_e64_dpp v5.l, v1.l, v2.l, v255.h quad_perm:[3,2,1,0]
// GFX11: v_min3_u16_e64_dpp v5.l, v1.l, v2.l, v255.h op_sel:[0,0,1,0] quad_perm:[3,2,1,0] row_mask:0xf bank_mask:0xf ; encoding: [0x05,0x20,0x4b,0xd6,0xfa,0x04,0xfe,0x07,0x01,0x1b,0x00,0xff]

v_min3_u16_e64_dpp v5.l, v1.l, v2.l, v255.l quad_perm:[3,2,1,0]
// GFX11: v_min3_u16_e64_dpp v5.l, v1.l, v2.l, v255.l quad_perm:[3,2,1,0] row_mask:0xf bank_mask:0xf ; encoding: [0x05,0x00,0x4b,0xd6,0xfa,0x04,0xfe,0x07,0x01,0x1b,0x00,0xff]

v_min3_u16_e64_dpp v5.l, v1.l, v2.l, v3.h quad_perm:[3,2,1,0]
// GFX11: v_min3_u16_e64_dpp v5.l, v1.l, v2.l, v3.h op_sel:[0,0,1,0] quad_perm:[3,2,1,0] row_mask:0xf bank_mask:0xf ; encoding: [0x05,0x20,0x4b,0xd6,0xfa,0x04,0x0e,0x04,0x01,0x1b,0x00,0xff]

v_min3_u16_e64_dpp v5.l, v1.l, v2.l, vcc_hi quad_perm:[3,2,1,0]
// GFX11: v_min3_u16_e64_dpp v5.l, v1.l, v2.l, vcc_hi quad_perm:[3,2,1,0] row_mask:0xf bank_mask:0xf ; encoding: [0x05,0x00,0x4b,0xd6,0xfa,0x04,0xae,0x01,0x01,0x1b,0x00,0xff]

v_min3_u16_e64_dpp v5.l, v1.l, v2.l, vcc_lo quad_perm:[3,2,1,0]
// GFX11: v_min3_u16_e64_dpp v5.l, v1.l, v2.l, vcc_lo quad_perm:[3,2,1,0] row_mask:0xf bank_mask:0xf ; encoding: [0x05,0x00,0x4b,0xd6,0xfa,0x04,0xaa,0x01,0x01,0x1b,0x00,0xff]

v_min3_u16_e64_dpp v5.l, v1.h, v2.l, v3.l op_sel:[1,0,0,0] quad_perm:[3,2,1,0]
// GFX11: v_min3_u16_e64_dpp v5.l, v1.h, v2.l, v3.l op_sel:[1,0,0,0] quad_perm:[3,2,1,0] row_mask:0xf bank_mask:0xf ; encoding: [0x05,0x08,0x4b,0xd6,0xfa,0x04,0x0e,0x04,0x01,0x1b,0x00,0xff]

v_min3_u16_e64_dpp v5.l, v1.l, v2.h, v3.l op_sel:[0,1,0,0] quad_perm:[3,2,1,0]
// GFX11: v_min3_u16_e64_dpp v5.l, v1.l, v2.h, v3.l op_sel:[0,1,0,0] quad_perm:[3,2,1,0] row_mask:0xf bank_mask:0xf ; encoding: [0x05,0x10,0x4b,0xd6,0xfa,0x04,0x0e,0x04,0x01,0x1b,0x00,0xff]

v_min3_u16_e64_dpp v5.l, v1.l, v2.l, v3.h op_sel:[0,0,1,0] quad_perm:[3,2,1,0]
// GFX11: v_min3_u16_e64_dpp v5.l, v1.l, v2.l, v3.h op_sel:[0,0,1,0] quad_perm:[3,2,1,0] row_mask:0xf bank_mask:0xf ; encoding: [0x05,0x20,0x4b,0xd6,0xfa,0x04,0x0e,0x04,0x01,0x1b,0x00,0xff]

v_min3_u16_e64_dpp v5.l, v1.l, v2.l, v3.l quad_perm:[3,2,1,0] bound_ctrl:0
// GFX11: v_min3_u16_e64_dpp v5.l, v1.l, v2.l, v3.l quad_perm:[3,2,1,0] row_mask:0xf bank_mask:0xf ; encoding: [0x05,0x00,0x4b,0xd6,0xfa,0x04,0x0e,0x04,0x01,0x1b,0x00,0xff]

v_min3_u16_e64_dpp v5.l, v1.l, v2.l, v3.l quad_perm:[3,2,1,0] bound_ctrl:1
// GFX11: v_min3_u16_e64_dpp v5.l, v1.l, v2.l, v3.l quad_perm:[3,2,1,0] row_mask:0xf bank_mask:0xf bound_ctrl:1 ; encoding: [0x05,0x00,0x4b,0xd6,0xfa,0x04,0x0e,0x04,0x01,0x1b,0x08,0xff]

v_min3_u16_e64_dpp v5.l, v1.l, v2.l, v3.l quad_perm:[0,1,2,3]
// GFX11: v_min3_u16_e64_dpp v5.l, v1.l, v2.l, v3.l quad_perm:[0,1,2,3] row_mask:0xf bank_mask:0xf ; encoding: [0x05,0x00,0x4b,0xd6,0xfa,0x04,0x0e,0x04,0x01,0xe4,0x00,0xff]

v_min3_u16_e64_dpp v5.l, v1.l, v2.l, v3.l row_half_mirror
// GFX11: v_min3_u16_e64_dpp v5.l, v1.l, v2.l, v3.l row_half_mirror row_mask:0xf bank_mask:0xf ; encoding: [0x05,0x00,0x4b,0xd6,0xfa,0x04,0x0e,0x04,0x01,0x41,0x01,0xff]

v_min3_u16_e64_dpp v5.l, v1.l, v2.l, v3.l row_mirror
// GFX11: v_min3_u16_e64_dpp v5.l, v1.l, v2.l, v3.l row_mirror row_mask:0xf bank_mask:0xf ; encoding: [0x05,0x00,0x4b,0xd6,0xfa,0x04,0x0e,0x04,0x01,0x40,0x01,0xff]

v_min3_u16_e64_dpp v5.l, v1.l, v2.l, v3.l row_ror:1
// GFX11: v_min3_u16_e64_dpp v5.l, v1.l, v2.l, v3.l row_ror:1 row_mask:0xf bank_mask:0xf ; encoding: [0x05,0x00,0x4b,0xd6,0xfa,0x04,0x0e,0x04,0x01,0x21,0x01,0xff]

v_min3_u16_e64_dpp v5.l, v1.l, v2.l, v3.l row_ror:15
// GFX11: v_min3_u16_e64_dpp v5.l, v1.l, v2.l, v3.l row_ror:15 row_mask:0xf bank_mask:0xf ; encoding: [0x05,0x00,0x4b,0xd6,0xfa,0x04,0x0e,0x04,0x01,0x2f,0x01,0xff]

v_min3_u16_e64_dpp v5.l, v1.l, v2.l, v3.l row_share:0
// GFX11: v_min3_u16_e64_dpp v5.l, v1.l, v2.l, v3.l row_share:0 row_mask:0xf bank_mask:0xf ; encoding: [0x05,0x00,0x4b,0xd6,0xfa,0x04,0x0e,0x04,0x01,0x50,0x01,0xff]

v_min3_u16_e64_dpp v5.l, v1.l, v2.l, v3.l row_share:15
// GFX11: v_min3_u16_e64_dpp v5.l, v1.l, v2.l, v3.l row_share:15 row_mask:0xf bank_mask:0xf ; encoding: [0x05,0x00,0x4b,0xd6,0xfa,0x04,0x0e,0x04,0x01,0x5f,0x01,0xff]

v_min3_u16_e64_dpp v5.l, v1.l, v2.l, v3.l row_shl:1
// GFX11: v_min3_u16_e64_dpp v5.l, v1.l, v2.l, v3.l row_shl:1 row_mask:0xf bank_mask:0xf ; encoding: [0x05,0x00,0x4b,0xd6,0xfa,0x04,0x0e,0x04,0x01,0x01,0x01,0xff]

v_min3_u16_e64_dpp v5.l, v1.l, v2.l, v3.l row_shl:15
// GFX11: v_min3_u16_e64_dpp v5.l, v1.l, v2.l, v3.l row_shl:15 row_mask:0xf bank_mask:0xf ; encoding: [0x05,0x00,0x4b,0xd6,0xfa,0x04,0x0e,0x04,0x01,0x0f,0x01,0xff]

v_min3_u16_e64_dpp v5.l, v1.l, v2.l, v3.l row_shr:1
// GFX11: v_min3_u16_e64_dpp v5.l, v1.l, v2.l, v3.l row_shr:1 row_mask:0xf bank_mask:0xf ; encoding: [0x05,0x00,0x4b,0xd6,0xfa,0x04,0x0e,0x04,0x01,0x11,0x01,0xff]

v_min3_u16_e64_dpp v5.l, v1.l, v2.l, v3.l row_shr:15
// GFX11: v_min3_u16_e64_dpp v5.l, v1.l, v2.l, v3.l row_shr:15 row_mask:0xf bank_mask:0xf ; encoding: [0x05,0x00,0x4b,0xd6,0xfa,0x04,0x0e,0x04,0x01,0x1f,0x01,0xff]

v_min3_u16_e64_dpp v5.l, v1.l, v2.l, v3.l row_xmask:0
// GFX11: v_min3_u16_e64_dpp v5.l, v1.l, v2.l, v3.l row_xmask:0 row_mask:0xf bank_mask:0xf ; encoding: [0x05,0x00,0x4b,0xd6,0xfa,0x04,0x0e,0x04,0x01,0x60,0x01,0xff]

v_min3_u16_e64_dpp v5.l, v1.l, v2.l, v3.l row_xmask:15
// GFX11: v_min3_u16_e64_dpp v5.l, v1.l, v2.l, v3.l row_xmask:15 row_mask:0xf bank_mask:0xf ; encoding: [0x05,0x00,0x4b,0xd6,0xfa,0x04,0x0e,0x04,0x01,0x6f,0x01,0xff]

v_min3_u16_e64_dpp v5.l, v1.l, v2.l, v3.l quad_perm:[3,2,1,0] fi:0
// GFX11: v_min3_u16_e64_dpp v5.l, v1.l, v2.l, v3.l quad_perm:[3,2,1,0] row_mask:0xf bank_mask:0xf ; encoding: [0x05,0x00,0x4b,0xd6,0xfa,0x04,0x0e,0x04,0x01,0x1b,0x00,0xff]

v_min3_u16_e64_dpp v5.l, v1.l, v2.l, v3.l quad_perm:[3,2,1,0] fi:1
// GFX11: v_min3_u16_e64_dpp v5.l, v1.l, v2.l, v3.l quad_perm:[3,2,1,0] row_mask:0xf bank_mask:0xf fi:1 ; encoding: [0x05,0x00,0x4b,0xd6,0xfa,0x04,0x0e,0x04,0x01,0x1b,0x04,0xff]

v_min3_u16_e64_dpp v5.l, v1.l, v2.l, v3.l quad_perm:[3,2,1,0] row_mask:0x0 bank_mask:0x1
// GFX11: v_min3_u16_e64_dpp v5.l, v1.l, v2.l, v3.l quad_perm:[3,2,1,0] row_mask:0x0 bank_mask:0x1 ; encoding: [0x05,0x00,0x4b,0xd6,0xfa,0x04,0x0e,0x04,0x01,0x1b,0x00,0x01]

v_min3_u16_e64_dpp v5.l, v1.l, v2.l, v3.l quad_perm:[3,2,1,0] row_mask:0x3 bank_mask:0x0
// GFX11: v_min3_u16_e64_dpp v5.l, v1.l, v2.l, v3.l quad_perm:[3,2,1,0] row_mask:0x3 bank_mask:0x0 ; encoding: [0x05,0x00,0x4b,0xd6,0xfa,0x04,0x0e,0x04,0x01,0x1b,0x00,0x30]
	;; [unrolled: 3-line block ×3, first 2 shown]

v_min3_u16_e64_dpp v5.l, v1.l, v2.l, v3.l clamp quad_perm:[3,2,1,0]
// GFX11: v_min3_u16_e64_dpp v5.l, v1.l, v2.l, v3.l clamp quad_perm:[3,2,1,0] row_mask:0xf bank_mask:0xf ; encoding: [0x05,0x80,0x4b,0xd6,0xfa,0x04,0x0e,0x04,0x01,0x1b,0x00,0xff]

v_min3_u32_e64_dpp v5, v1, v2, v3 quad_perm:[3,2,1,0]
// GFX11: v_min3_u32_e64_dpp v5, v1, v2, v3 quad_perm:[3,2,1,0] row_mask:0xf bank_mask:0xf ; encoding: [0x05,0x00,0x1b,0xd6,0xfa,0x04,0x0e,0x04,0x01,0x1b,0x00,0xff]

v_min3_u32_e64_dpp v255, v255, v255, v255 quad_perm:[3,2,1,0]
// GFX11: v_min3_u32_e64_dpp v255, v255, v255, v255 quad_perm:[3,2,1,0] row_mask:0xf bank_mask:0xf ; encoding: [0xff,0x00,0x1b,0xd6,0xfa,0xfe,0xff,0x07,0xff,0x1b,0x00,0xff]

v_min3_u32_e64_dpp v5, v1, v2, -1 quad_perm:[3,2,1,0]
// GFX11: v_min3_u32_e64_dpp v5, v1, v2, -1 quad_perm:[3,2,1,0] row_mask:0xf bank_mask:0xf ; encoding: [0x05,0x00,0x1b,0xd6,0xfa,0x04,0x06,0x03,0x01,0x1b,0x00,0xff]

v_min3_u32_e64_dpp v5, v1, v2, 0.5 quad_perm:[3,2,1,0]
// GFX11: v_min3_u32_e64_dpp v5, v1, v2, 0.5 quad_perm:[3,2,1,0] row_mask:0xf bank_mask:0xf ; encoding: [0x05,0x00,0x1b,0xd6,0xfa,0x04,0xc2,0x03,0x01,0x1b,0x00,0xff]

v_min3_u32_e64_dpp v5, v1, v2, exec_hi quad_perm:[3,2,1,0]
// GFX11: v_min3_u32_e64_dpp v5, v1, v2, exec_hi quad_perm:[3,2,1,0] row_mask:0xf bank_mask:0xf ; encoding: [0x05,0x00,0x1b,0xd6,0xfa,0x04,0xfe,0x01,0x01,0x1b,0x00,0xff]

v_min3_u32_e64_dpp v5, v1, v2, exec_lo quad_perm:[3,2,1,0]
// GFX11: v_min3_u32_e64_dpp v5, v1, v2, exec_lo quad_perm:[3,2,1,0] row_mask:0xf bank_mask:0xf ; encoding: [0x05,0x00,0x1b,0xd6,0xfa,0x04,0xfa,0x01,0x01,0x1b,0x00,0xff]

v_min3_u32_e64_dpp v5, v1, v2, m0 quad_perm:[3,2,1,0]
// GFX11: v_min3_u32_e64_dpp v5, v1, v2, m0 quad_perm:[3,2,1,0] row_mask:0xf bank_mask:0xf ; encoding: [0x05,0x00,0x1b,0xd6,0xfa,0x04,0xf6,0x01,0x01,0x1b,0x00,0xff]

v_min3_u32_e64_dpp v5, v1, v2, null quad_perm:[3,2,1,0]
// GFX11: v_min3_u32_e64_dpp v5, v1, v2, null quad_perm:[3,2,1,0] row_mask:0xf bank_mask:0xf ; encoding: [0x05,0x00,0x1b,0xd6,0xfa,0x04,0xf2,0x01,0x01,0x1b,0x00,0xff]

v_min3_u32_e64_dpp v5, v1, v2, s105 quad_perm:[3,2,1,0]
// GFX11: v_min3_u32_e64_dpp v5, v1, v2, s105 quad_perm:[3,2,1,0] row_mask:0xf bank_mask:0xf ; encoding: [0x05,0x00,0x1b,0xd6,0xfa,0x04,0xa6,0x01,0x01,0x1b,0x00,0xff]

v_min3_u32_e64_dpp v5, v1, v2, s3 quad_perm:[3,2,1,0]
// GFX11: v_min3_u32_e64_dpp v5, v1, v2, s3 quad_perm:[3,2,1,0] row_mask:0xf bank_mask:0xf ; encoding: [0x05,0x00,0x1b,0xd6,0xfa,0x04,0x0e,0x00,0x01,0x1b,0x00,0xff]

v_min3_u32_e64_dpp v5, v1, v2, src_scc quad_perm:[3,2,1,0]
// GFX11: v_min3_u32_e64_dpp v5, v1, v2, src_scc quad_perm:[3,2,1,0] row_mask:0xf bank_mask:0xf ; encoding: [0x05,0x00,0x1b,0xd6,0xfa,0x04,0xf6,0x03,0x01,0x1b,0x00,0xff]

v_min3_u32_e64_dpp v5, v1, v2, ttmp15 quad_perm:[3,2,1,0]
// GFX11: v_min3_u32_e64_dpp v5, v1, v2, ttmp15 quad_perm:[3,2,1,0] row_mask:0xf bank_mask:0xf ; encoding: [0x05,0x00,0x1b,0xd6,0xfa,0x04,0xee,0x01,0x01,0x1b,0x00,0xff]

v_min3_u32_e64_dpp v5, v1, v2, v255 quad_perm:[3,2,1,0]
// GFX11: v_min3_u32_e64_dpp v5, v1, v2, v255 quad_perm:[3,2,1,0] row_mask:0xf bank_mask:0xf ; encoding: [0x05,0x00,0x1b,0xd6,0xfa,0x04,0xfe,0x07,0x01,0x1b,0x00,0xff]

v_min3_u32_e64_dpp v5, v1, v2, vcc_hi quad_perm:[3,2,1,0]
// GFX11: v_min3_u32_e64_dpp v5, v1, v2, vcc_hi quad_perm:[3,2,1,0] row_mask:0xf bank_mask:0xf ; encoding: [0x05,0x00,0x1b,0xd6,0xfa,0x04,0xae,0x01,0x01,0x1b,0x00,0xff]

v_min3_u32_e64_dpp v5, v1, v2, vcc_lo quad_perm:[3,2,1,0]
// GFX11: v_min3_u32_e64_dpp v5, v1, v2, vcc_lo quad_perm:[3,2,1,0] row_mask:0xf bank_mask:0xf ; encoding: [0x05,0x00,0x1b,0xd6,0xfa,0x04,0xaa,0x01,0x01,0x1b,0x00,0xff]

v_min3_u32_e64_dpp v5, v1, v2, v3 quad_perm:[3,2,1,0] bound_ctrl:0
// GFX11: v_min3_u32_e64_dpp v5, v1, v2, v3 quad_perm:[3,2,1,0] row_mask:0xf bank_mask:0xf ; encoding: [0x05,0x00,0x1b,0xd6,0xfa,0x04,0x0e,0x04,0x01,0x1b,0x00,0xff]

v_min3_u32_e64_dpp v5, v1, v2, v3 quad_perm:[3,2,1,0] bound_ctrl:1
// GFX11: v_min3_u32_e64_dpp v5, v1, v2, v3 quad_perm:[3,2,1,0] row_mask:0xf bank_mask:0xf bound_ctrl:1 ; encoding: [0x05,0x00,0x1b,0xd6,0xfa,0x04,0x0e,0x04,0x01,0x1b,0x08,0xff]

v_min3_u32_e64_dpp v5, v1, v2, v3 quad_perm:[0,1,2,3]
// GFX11: v_min3_u32_e64_dpp v5, v1, v2, v3 quad_perm:[0,1,2,3] row_mask:0xf bank_mask:0xf ; encoding: [0x05,0x00,0x1b,0xd6,0xfa,0x04,0x0e,0x04,0x01,0xe4,0x00,0xff]

v_min3_u32_e64_dpp v5, v1, v2, v3 row_half_mirror
// GFX11: v_min3_u32_e64_dpp v5, v1, v2, v3 row_half_mirror row_mask:0xf bank_mask:0xf ; encoding: [0x05,0x00,0x1b,0xd6,0xfa,0x04,0x0e,0x04,0x01,0x41,0x01,0xff]

v_min3_u32_e64_dpp v5, v1, v2, v3 row_mirror
// GFX11: v_min3_u32_e64_dpp v5, v1, v2, v3 row_mirror row_mask:0xf bank_mask:0xf ; encoding: [0x05,0x00,0x1b,0xd6,0xfa,0x04,0x0e,0x04,0x01,0x40,0x01,0xff]

v_min3_u32_e64_dpp v5, v1, v2, v3 row_ror:1
// GFX11: v_min3_u32_e64_dpp v5, v1, v2, v3 row_ror:1 row_mask:0xf bank_mask:0xf ; encoding: [0x05,0x00,0x1b,0xd6,0xfa,0x04,0x0e,0x04,0x01,0x21,0x01,0xff]

v_min3_u32_e64_dpp v5, v1, v2, v3 row_ror:15
// GFX11: v_min3_u32_e64_dpp v5, v1, v2, v3 row_ror:15 row_mask:0xf bank_mask:0xf ; encoding: [0x05,0x00,0x1b,0xd6,0xfa,0x04,0x0e,0x04,0x01,0x2f,0x01,0xff]

v_min3_u32_e64_dpp v5, v1, v2, v3 row_share:0
// GFX11: v_min3_u32_e64_dpp v5, v1, v2, v3 row_share:0 row_mask:0xf bank_mask:0xf ; encoding: [0x05,0x00,0x1b,0xd6,0xfa,0x04,0x0e,0x04,0x01,0x50,0x01,0xff]

v_min3_u32_e64_dpp v5, v1, v2, v3 row_share:15
// GFX11: v_min3_u32_e64_dpp v5, v1, v2, v3 row_share:15 row_mask:0xf bank_mask:0xf ; encoding: [0x05,0x00,0x1b,0xd6,0xfa,0x04,0x0e,0x04,0x01,0x5f,0x01,0xff]

v_min3_u32_e64_dpp v5, v1, v2, v3 row_shl:1
// GFX11: v_min3_u32_e64_dpp v5, v1, v2, v3 row_shl:1 row_mask:0xf bank_mask:0xf ; encoding: [0x05,0x00,0x1b,0xd6,0xfa,0x04,0x0e,0x04,0x01,0x01,0x01,0xff]

v_min3_u32_e64_dpp v5, v1, v2, v3 row_shl:15
// GFX11: v_min3_u32_e64_dpp v5, v1, v2, v3 row_shl:15 row_mask:0xf bank_mask:0xf ; encoding: [0x05,0x00,0x1b,0xd6,0xfa,0x04,0x0e,0x04,0x01,0x0f,0x01,0xff]

v_min3_u32_e64_dpp v5, v1, v2, v3 row_shr:1
// GFX11: v_min3_u32_e64_dpp v5, v1, v2, v3 row_shr:1 row_mask:0xf bank_mask:0xf ; encoding: [0x05,0x00,0x1b,0xd6,0xfa,0x04,0x0e,0x04,0x01,0x11,0x01,0xff]

v_min3_u32_e64_dpp v5, v1, v2, v3 row_shr:15
// GFX11: v_min3_u32_e64_dpp v5, v1, v2, v3 row_shr:15 row_mask:0xf bank_mask:0xf ; encoding: [0x05,0x00,0x1b,0xd6,0xfa,0x04,0x0e,0x04,0x01,0x1f,0x01,0xff]

v_min3_u32_e64_dpp v5, v1, v2, v3 row_xmask:0
// GFX11: v_min3_u32_e64_dpp v5, v1, v2, v3 row_xmask:0 row_mask:0xf bank_mask:0xf ; encoding: [0x05,0x00,0x1b,0xd6,0xfa,0x04,0x0e,0x04,0x01,0x60,0x01,0xff]

v_min3_u32_e64_dpp v5, v1, v2, v3 row_xmask:15
// GFX11: v_min3_u32_e64_dpp v5, v1, v2, v3 row_xmask:15 row_mask:0xf bank_mask:0xf ; encoding: [0x05,0x00,0x1b,0xd6,0xfa,0x04,0x0e,0x04,0x01,0x6f,0x01,0xff]

v_min3_u32_e64_dpp v5, v1, v2, v3 quad_perm:[3,2,1,0] fi:0
// GFX11: v_min3_u32_e64_dpp v5, v1, v2, v3 quad_perm:[3,2,1,0] row_mask:0xf bank_mask:0xf ; encoding: [0x05,0x00,0x1b,0xd6,0xfa,0x04,0x0e,0x04,0x01,0x1b,0x00,0xff]

v_min3_u32_e64_dpp v5, v1, v2, v3 quad_perm:[3,2,1,0] fi:1
// GFX11: v_min3_u32_e64_dpp v5, v1, v2, v3 quad_perm:[3,2,1,0] row_mask:0xf bank_mask:0xf fi:1 ; encoding: [0x05,0x00,0x1b,0xd6,0xfa,0x04,0x0e,0x04,0x01,0x1b,0x04,0xff]

v_min3_u32_e64_dpp v5, v1, v2, v3 quad_perm:[3,2,1,0] row_mask:0x0 bank_mask:0x1
// GFX11: v_min3_u32_e64_dpp v5, v1, v2, v3 quad_perm:[3,2,1,0] row_mask:0x0 bank_mask:0x1 ; encoding: [0x05,0x00,0x1b,0xd6,0xfa,0x04,0x0e,0x04,0x01,0x1b,0x00,0x01]

v_min3_u32_e64_dpp v5, v1, v2, v3 quad_perm:[3,2,1,0] row_mask:0x3 bank_mask:0x0
// GFX11: v_min3_u32_e64_dpp v5, v1, v2, v3 quad_perm:[3,2,1,0] row_mask:0x3 bank_mask:0x0 ; encoding: [0x05,0x00,0x1b,0xd6,0xfa,0x04,0x0e,0x04,0x01,0x1b,0x00,0x30]
	;; [unrolled: 3-line block ×3, first 2 shown]

v_min_i16_e64_dpp v5.l, v1.l, v2.l quad_perm:[3,2,1,0]
// GFX11: v_min_i16_e64_dpp v5.l, v1.l, v2.l quad_perm:[3,2,1,0] row_mask:0xf bank_mask:0xf ; encoding: [0x05,0x00,0x0c,0xd7,0xfa,0x04,0x02,0x00,0x01,0x1b,0x00,0xff]

v_min_i16_e64_dpp v255.l, v255.l, v255.l quad_perm:[3,2,1,0]
// GFX11: v_min_i16_e64_dpp v255.l, v255.l, v255.l quad_perm:[3,2,1,0] row_mask:0xf bank_mask:0xf ; encoding: [0xff,0x00,0x0c,0xd7,0xfa,0xfe,0x03,0x00,0xff,0x1b,0x00,0xff]

v_min_i16_e64_dpp v5.l, v1.h, v2.l op_sel:[1,0,0] quad_perm:[3,2,1,0]
// GFX11: v_min_i16_e64_dpp v5.l, v1.h, v2.l op_sel:[1,0,0] quad_perm:[3,2,1,0] row_mask:0xf bank_mask:0xf ; encoding: [0x05,0x08,0x0c,0xd7,0xfa,0x04,0x02,0x00,0x01,0x1b,0x00,0xff]

v_min_i16_e64_dpp v5.l, v1.l, v2.h op_sel:[0,1,0] quad_perm:[3,2,1,0]
// GFX11: v_min_i16_e64_dpp v5.l, v1.l, v2.h op_sel:[0,1,0] quad_perm:[3,2,1,0] row_mask:0xf bank_mask:0xf ; encoding: [0x05,0x10,0x0c,0xd7,0xfa,0x04,0x02,0x00,0x01,0x1b,0x00,0xff]

v_min_i16_e64_dpp v5.l, v1.l, v2.l quad_perm:[3,2,1,0] bound_ctrl:0
// GFX11: v_min_i16_e64_dpp v5.l, v1.l, v2.l quad_perm:[3,2,1,0] row_mask:0xf bank_mask:0xf ; encoding: [0x05,0x00,0x0c,0xd7,0xfa,0x04,0x02,0x00,0x01,0x1b,0x00,0xff]

v_min_i16_e64_dpp v5.l, v1.l, v2.l quad_perm:[3,2,1,0] bound_ctrl:1
// GFX11: v_min_i16_e64_dpp v5.l, v1.l, v2.l quad_perm:[3,2,1,0] row_mask:0xf bank_mask:0xf bound_ctrl:1 ; encoding: [0x05,0x00,0x0c,0xd7,0xfa,0x04,0x02,0x00,0x01,0x1b,0x08,0xff]

v_min_i16_e64_dpp v5.l, v1.l, v2.l quad_perm:[0,1,2,3]
// GFX11: v_min_i16_e64_dpp v5.l, v1.l, v2.l quad_perm:[0,1,2,3] row_mask:0xf bank_mask:0xf ; encoding: [0x05,0x00,0x0c,0xd7,0xfa,0x04,0x02,0x00,0x01,0xe4,0x00,0xff]

v_min_i16_e64_dpp v5.l, v1.l, v2.l row_half_mirror
// GFX11: v_min_i16_e64_dpp v5.l, v1.l, v2.l row_half_mirror row_mask:0xf bank_mask:0xf ; encoding: [0x05,0x00,0x0c,0xd7,0xfa,0x04,0x02,0x00,0x01,0x41,0x01,0xff]

v_min_i16_e64_dpp v5.l, v1.l, v2.l row_mirror
// GFX11: v_min_i16_e64_dpp v5.l, v1.l, v2.l row_mirror row_mask:0xf bank_mask:0xf ; encoding: [0x05,0x00,0x0c,0xd7,0xfa,0x04,0x02,0x00,0x01,0x40,0x01,0xff]

v_min_i16_e64_dpp v5.l, v1.l, v2.l row_ror:1
// GFX11: v_min_i16_e64_dpp v5.l, v1.l, v2.l row_ror:1 row_mask:0xf bank_mask:0xf ; encoding: [0x05,0x00,0x0c,0xd7,0xfa,0x04,0x02,0x00,0x01,0x21,0x01,0xff]

v_min_i16_e64_dpp v5.l, v1.l, v2.l row_ror:15
// GFX11: v_min_i16_e64_dpp v5.l, v1.l, v2.l row_ror:15 row_mask:0xf bank_mask:0xf ; encoding: [0x05,0x00,0x0c,0xd7,0xfa,0x04,0x02,0x00,0x01,0x2f,0x01,0xff]

v_min_i16_e64_dpp v5.l, v1.l, v2.l row_share:0
// GFX11: v_min_i16_e64_dpp v5.l, v1.l, v2.l row_share:0 row_mask:0xf bank_mask:0xf ; encoding: [0x05,0x00,0x0c,0xd7,0xfa,0x04,0x02,0x00,0x01,0x50,0x01,0xff]

v_min_i16_e64_dpp v5.l, v1.l, v2.l row_share:15
// GFX11: v_min_i16_e64_dpp v5.l, v1.l, v2.l row_share:15 row_mask:0xf bank_mask:0xf ; encoding: [0x05,0x00,0x0c,0xd7,0xfa,0x04,0x02,0x00,0x01,0x5f,0x01,0xff]

v_min_i16_e64_dpp v5.l, v1.l, v2.l row_shl:1
// GFX11: v_min_i16_e64_dpp v5.l, v1.l, v2.l row_shl:1 row_mask:0xf bank_mask:0xf ; encoding: [0x05,0x00,0x0c,0xd7,0xfa,0x04,0x02,0x00,0x01,0x01,0x01,0xff]

v_min_i16_e64_dpp v5.l, v1.l, v2.l row_shl:15
// GFX11: v_min_i16_e64_dpp v5.l, v1.l, v2.l row_shl:15 row_mask:0xf bank_mask:0xf ; encoding: [0x05,0x00,0x0c,0xd7,0xfa,0x04,0x02,0x00,0x01,0x0f,0x01,0xff]

v_min_i16_e64_dpp v5.l, v1.l, v2.l row_shr:1
// GFX11: v_min_i16_e64_dpp v5.l, v1.l, v2.l row_shr:1 row_mask:0xf bank_mask:0xf ; encoding: [0x05,0x00,0x0c,0xd7,0xfa,0x04,0x02,0x00,0x01,0x11,0x01,0xff]

v_min_i16_e64_dpp v5.l, v1.l, v2.l row_shr:15
// GFX11: v_min_i16_e64_dpp v5.l, v1.l, v2.l row_shr:15 row_mask:0xf bank_mask:0xf ; encoding: [0x05,0x00,0x0c,0xd7,0xfa,0x04,0x02,0x00,0x01,0x1f,0x01,0xff]

v_min_i16_e64_dpp v5.l, v1.l, v2.l row_xmask:0
// GFX11: v_min_i16_e64_dpp v5.l, v1.l, v2.l row_xmask:0 row_mask:0xf bank_mask:0xf ; encoding: [0x05,0x00,0x0c,0xd7,0xfa,0x04,0x02,0x00,0x01,0x60,0x01,0xff]

v_min_i16_e64_dpp v5.l, v1.l, v2.l row_xmask:15
// GFX11: v_min_i16_e64_dpp v5.l, v1.l, v2.l row_xmask:15 row_mask:0xf bank_mask:0xf ; encoding: [0x05,0x00,0x0c,0xd7,0xfa,0x04,0x02,0x00,0x01,0x6f,0x01,0xff]

v_min_i16_e64_dpp v5.l, v1.l, v2.l quad_perm:[3,2,1,0] fi:0
// GFX11: v_min_i16_e64_dpp v5.l, v1.l, v2.l quad_perm:[3,2,1,0] row_mask:0xf bank_mask:0xf ; encoding: [0x05,0x00,0x0c,0xd7,0xfa,0x04,0x02,0x00,0x01,0x1b,0x00,0xff]

v_min_i16_e64_dpp v5.l, v1.l, v2.l quad_perm:[3,2,1,0] fi:1
// GFX11: v_min_i16_e64_dpp v5.l, v1.l, v2.l quad_perm:[3,2,1,0] row_mask:0xf bank_mask:0xf fi:1 ; encoding: [0x05,0x00,0x0c,0xd7,0xfa,0x04,0x02,0x00,0x01,0x1b,0x04,0xff]

v_min_i16_e64_dpp v5.l, v1.l, v2.l quad_perm:[3,2,1,0] row_mask:0x0 bank_mask:0x1
// GFX11: v_min_i16_e64_dpp v5.l, v1.l, v2.l quad_perm:[3,2,1,0] row_mask:0x0 bank_mask:0x1 ; encoding: [0x05,0x00,0x0c,0xd7,0xfa,0x04,0x02,0x00,0x01,0x1b,0x00,0x01]

v_min_i16_e64_dpp v5.l, v1.l, v2.l quad_perm:[3,2,1,0] row_mask:0x3 bank_mask:0x0
// GFX11: v_min_i16_e64_dpp v5.l, v1.l, v2.l quad_perm:[3,2,1,0] row_mask:0x3 bank_mask:0x0 ; encoding: [0x05,0x00,0x0c,0xd7,0xfa,0x04,0x02,0x00,0x01,0x1b,0x00,0x30]
	;; [unrolled: 3-line block ×3, first 2 shown]

v_min_u16_e64_dpp v5.l, v1.l, v2.l quad_perm:[3,2,1,0]
// GFX11: v_min_u16_e64_dpp v5.l, v1.l, v2.l quad_perm:[3,2,1,0] row_mask:0xf bank_mask:0xf ; encoding: [0x05,0x00,0x0b,0xd7,0xfa,0x04,0x02,0x00,0x01,0x1b,0x00,0xff]

v_min_u16_e64_dpp v255.l, v255.l, v255.l quad_perm:[3,2,1,0]
// GFX11: v_min_u16_e64_dpp v255.l, v255.l, v255.l quad_perm:[3,2,1,0] row_mask:0xf bank_mask:0xf ; encoding: [0xff,0x00,0x0b,0xd7,0xfa,0xfe,0x03,0x00,0xff,0x1b,0x00,0xff]

v_min_u16_e64_dpp v5.l, v1.h, v2.l op_sel:[1,0,0] quad_perm:[3,2,1,0]
// GFX11: v_min_u16_e64_dpp v5.l, v1.h, v2.l op_sel:[1,0,0] quad_perm:[3,2,1,0] row_mask:0xf bank_mask:0xf ; encoding: [0x05,0x08,0x0b,0xd7,0xfa,0x04,0x02,0x00,0x01,0x1b,0x00,0xff]

v_min_u16_e64_dpp v5.l, v1.l, v2.h op_sel:[0,1,0] quad_perm:[3,2,1,0]
// GFX11: v_min_u16_e64_dpp v5.l, v1.l, v2.h op_sel:[0,1,0] quad_perm:[3,2,1,0] row_mask:0xf bank_mask:0xf ; encoding: [0x05,0x10,0x0b,0xd7,0xfa,0x04,0x02,0x00,0x01,0x1b,0x00,0xff]

v_min_u16_e64_dpp v5.l, v1.l, v2.l quad_perm:[3,2,1,0] bound_ctrl:0
// GFX11: v_min_u16_e64_dpp v5.l, v1.l, v2.l quad_perm:[3,2,1,0] row_mask:0xf bank_mask:0xf ; encoding: [0x05,0x00,0x0b,0xd7,0xfa,0x04,0x02,0x00,0x01,0x1b,0x00,0xff]

v_min_u16_e64_dpp v5.l, v1.l, v2.l quad_perm:[3,2,1,0] bound_ctrl:1
// GFX11: v_min_u16_e64_dpp v5.l, v1.l, v2.l quad_perm:[3,2,1,0] row_mask:0xf bank_mask:0xf bound_ctrl:1 ; encoding: [0x05,0x00,0x0b,0xd7,0xfa,0x04,0x02,0x00,0x01,0x1b,0x08,0xff]

v_min_u16_e64_dpp v5.l, v1.l, v2.l quad_perm:[0,1,2,3]
// GFX11: v_min_u16_e64_dpp v5.l, v1.l, v2.l quad_perm:[0,1,2,3] row_mask:0xf bank_mask:0xf ; encoding: [0x05,0x00,0x0b,0xd7,0xfa,0x04,0x02,0x00,0x01,0xe4,0x00,0xff]

v_min_u16_e64_dpp v5.l, v1.l, v2.l row_half_mirror
// GFX11: v_min_u16_e64_dpp v5.l, v1.l, v2.l row_half_mirror row_mask:0xf bank_mask:0xf ; encoding: [0x05,0x00,0x0b,0xd7,0xfa,0x04,0x02,0x00,0x01,0x41,0x01,0xff]

v_min_u16_e64_dpp v5.l, v1.l, v2.l row_mirror
// GFX11: v_min_u16_e64_dpp v5.l, v1.l, v2.l row_mirror row_mask:0xf bank_mask:0xf ; encoding: [0x05,0x00,0x0b,0xd7,0xfa,0x04,0x02,0x00,0x01,0x40,0x01,0xff]

v_min_u16_e64_dpp v5.l, v1.l, v2.l row_ror:1
// GFX11: v_min_u16_e64_dpp v5.l, v1.l, v2.l row_ror:1 row_mask:0xf bank_mask:0xf ; encoding: [0x05,0x00,0x0b,0xd7,0xfa,0x04,0x02,0x00,0x01,0x21,0x01,0xff]

v_min_u16_e64_dpp v5.l, v1.l, v2.l row_ror:15
// GFX11: v_min_u16_e64_dpp v5.l, v1.l, v2.l row_ror:15 row_mask:0xf bank_mask:0xf ; encoding: [0x05,0x00,0x0b,0xd7,0xfa,0x04,0x02,0x00,0x01,0x2f,0x01,0xff]

v_min_u16_e64_dpp v5.l, v1.l, v2.l row_share:0
// GFX11: v_min_u16_e64_dpp v5.l, v1.l, v2.l row_share:0 row_mask:0xf bank_mask:0xf ; encoding: [0x05,0x00,0x0b,0xd7,0xfa,0x04,0x02,0x00,0x01,0x50,0x01,0xff]

v_min_u16_e64_dpp v5.l, v1.l, v2.l row_share:15
// GFX11: v_min_u16_e64_dpp v5.l, v1.l, v2.l row_share:15 row_mask:0xf bank_mask:0xf ; encoding: [0x05,0x00,0x0b,0xd7,0xfa,0x04,0x02,0x00,0x01,0x5f,0x01,0xff]

v_min_u16_e64_dpp v5.l, v1.l, v2.l row_shl:1
// GFX11: v_min_u16_e64_dpp v5.l, v1.l, v2.l row_shl:1 row_mask:0xf bank_mask:0xf ; encoding: [0x05,0x00,0x0b,0xd7,0xfa,0x04,0x02,0x00,0x01,0x01,0x01,0xff]

v_min_u16_e64_dpp v5.l, v1.l, v2.l row_shl:15
// GFX11: v_min_u16_e64_dpp v5.l, v1.l, v2.l row_shl:15 row_mask:0xf bank_mask:0xf ; encoding: [0x05,0x00,0x0b,0xd7,0xfa,0x04,0x02,0x00,0x01,0x0f,0x01,0xff]

v_min_u16_e64_dpp v5.l, v1.l, v2.l row_shr:1
// GFX11: v_min_u16_e64_dpp v5.l, v1.l, v2.l row_shr:1 row_mask:0xf bank_mask:0xf ; encoding: [0x05,0x00,0x0b,0xd7,0xfa,0x04,0x02,0x00,0x01,0x11,0x01,0xff]

v_min_u16_e64_dpp v5.l, v1.l, v2.l row_shr:15
// GFX11: v_min_u16_e64_dpp v5.l, v1.l, v2.l row_shr:15 row_mask:0xf bank_mask:0xf ; encoding: [0x05,0x00,0x0b,0xd7,0xfa,0x04,0x02,0x00,0x01,0x1f,0x01,0xff]

v_min_u16_e64_dpp v5.l, v1.l, v2.l row_xmask:0
// GFX11: v_min_u16_e64_dpp v5.l, v1.l, v2.l row_xmask:0 row_mask:0xf bank_mask:0xf ; encoding: [0x05,0x00,0x0b,0xd7,0xfa,0x04,0x02,0x00,0x01,0x60,0x01,0xff]

v_min_u16_e64_dpp v5.l, v1.l, v2.l row_xmask:15
// GFX11: v_min_u16_e64_dpp v5.l, v1.l, v2.l row_xmask:15 row_mask:0xf bank_mask:0xf ; encoding: [0x05,0x00,0x0b,0xd7,0xfa,0x04,0x02,0x00,0x01,0x6f,0x01,0xff]

v_min_u16_e64_dpp v5.l, v1.l, v2.l quad_perm:[3,2,1,0] fi:0
// GFX11: v_min_u16_e64_dpp v5.l, v1.l, v2.l quad_perm:[3,2,1,0] row_mask:0xf bank_mask:0xf ; encoding: [0x05,0x00,0x0b,0xd7,0xfa,0x04,0x02,0x00,0x01,0x1b,0x00,0xff]

v_min_u16_e64_dpp v5.l, v1.l, v2.l quad_perm:[3,2,1,0] fi:1
// GFX11: v_min_u16_e64_dpp v5.l, v1.l, v2.l quad_perm:[3,2,1,0] row_mask:0xf bank_mask:0xf fi:1 ; encoding: [0x05,0x00,0x0b,0xd7,0xfa,0x04,0x02,0x00,0x01,0x1b,0x04,0xff]

v_min_u16_e64_dpp v5.l, v1.l, v2.l quad_perm:[3,2,1,0] row_mask:0x0 bank_mask:0x1
// GFX11: v_min_u16_e64_dpp v5.l, v1.l, v2.l quad_perm:[3,2,1,0] row_mask:0x0 bank_mask:0x1 ; encoding: [0x05,0x00,0x0b,0xd7,0xfa,0x04,0x02,0x00,0x01,0x1b,0x00,0x01]

v_min_u16_e64_dpp v5.l, v1.l, v2.l quad_perm:[3,2,1,0] row_mask:0x3 bank_mask:0x0
// GFX11: v_min_u16_e64_dpp v5.l, v1.l, v2.l quad_perm:[3,2,1,0] row_mask:0x3 bank_mask:0x0 ; encoding: [0x05,0x00,0x0b,0xd7,0xfa,0x04,0x02,0x00,0x01,0x1b,0x00,0x30]
	;; [unrolled: 3-line block ×3, first 2 shown]

v_minmax_f16_e64_dpp v5.l, v1.l, v2.l, v3.l quad_perm:[3,2,1,0]
// GFX11: v_minmax_f16_e64_dpp v5.l, v1.l, v2.l, v3.l quad_perm:[3,2,1,0] row_mask:0xf bank_mask:0xf ; encoding: [0x05,0x00,0x61,0xd6,0xfa,0x04,0x0e,0x04,0x01,0x1b,0x00,0xff]

v_minmax_f16_e64_dpp v255.l, v255.l, v255.l, v255.l quad_perm:[3,2,1,0]
// GFX11: v_minmax_f16_e64_dpp v255.l, v255.l, v255.l, v255.l quad_perm:[3,2,1,0] row_mask:0xf bank_mask:0xf ; encoding: [0xff,0x00,0x61,0xd6,0xfa,0xfe,0xff,0x07,0xff,0x1b,0x00,0xff]

v_minmax_f16_e64_dpp v5.l, -v7.l, v2.l, v3.l quad_perm:[3,2,1,0]
// GFX11: v_minmax_f16_e64_dpp v5.l, -v7.l, v2.l, v3.l quad_perm:[3,2,1,0] row_mask:0xf bank_mask:0xf ; encoding: [0x05,0x00,0x61,0xd6,0xfa,0x04,0x0e,0x24,0x07,0x1b,0x00,0xff]

v_minmax_f16_e64_dpp v5.l, |v7.l|, v2.l, v3.l quad_perm:[3,2,1,0]
// GFX11: v_minmax_f16_e64_dpp v5.l, |v7.l|, v2.l, v3.l quad_perm:[3,2,1,0] row_mask:0xf bank_mask:0xf ; encoding: [0x05,0x01,0x61,0xd6,0xfa,0x04,0x0e,0x04,0x07,0x1b,0x00,0xff]

v_minmax_f16_e64_dpp v5.l, -|v7.l|, v2.l, v3.l quad_perm:[3,2,1,0]
// GFX11: v_minmax_f16_e64_dpp v5.l, -|v7.l|, v2.l, v3.l quad_perm:[3,2,1,0] row_mask:0xf bank_mask:0xf ; encoding: [0x05,0x01,0x61,0xd6,0xfa,0x04,0x0e,0x24,0x07,0x1b,0x00,0xff]

v_minmax_f16_e64_dpp v5.l, v1.l, -v7.l, v3.l quad_perm:[3,2,1,0]
// GFX11: v_minmax_f16_e64_dpp v5.l, v1.l, -v7.l, v3.l quad_perm:[3,2,1,0] row_mask:0xf bank_mask:0xf ; encoding: [0x05,0x00,0x61,0xd6,0xfa,0x0e,0x0e,0x44,0x01,0x1b,0x00,0xff]

v_minmax_f16_e64_dpp v5.l, v1.l, |v7.l|, v3.l quad_perm:[3,2,1,0]
// GFX11: v_minmax_f16_e64_dpp v5.l, v1.l, |v7.l|, v3.l quad_perm:[3,2,1,0] row_mask:0xf bank_mask:0xf ; encoding: [0x05,0x02,0x61,0xd6,0xfa,0x0e,0x0e,0x04,0x01,0x1b,0x00,0xff]

v_minmax_f16_e64_dpp v5.l, v1.l, -|v7.l|, v3.l quad_perm:[3,2,1,0]
// GFX11: v_minmax_f16_e64_dpp v5.l, v1.l, -|v7.l|, v3.l quad_perm:[3,2,1,0] row_mask:0xf bank_mask:0xf ; encoding: [0x05,0x02,0x61,0xd6,0xfa,0x0e,0x0e,0x44,0x01,0x1b,0x00,0xff]

v_minmax_f16_e64_dpp v5.l, v1.l, v2.l, -1 quad_perm:[3,2,1,0]
// GFX11: v_minmax_f16_e64_dpp v5.l, v1.l, v2.l, -1 quad_perm:[3,2,1,0] row_mask:0xf bank_mask:0xf ; encoding: [0x05,0x00,0x61,0xd6,0xfa,0x04,0x06,0x03,0x01,0x1b,0x00,0xff]

v_minmax_f16_e64_dpp v5.l, v1.l, v2.l, 0.5 quad_perm:[3,2,1,0]
// GFX11: v_minmax_f16_e64_dpp v5.l, v1.l, v2.l, 0.5 quad_perm:[3,2,1,0] row_mask:0xf bank_mask:0xf ; encoding: [0x05,0x00,0x61,0xd6,0xfa,0x04,0xc2,0x03,0x01,0x1b,0x00,0xff]

v_minmax_f16_e64_dpp v5.l, v1.l, v2.l, exec_hi quad_perm:[3,2,1,0]
// GFX11: v_minmax_f16_e64_dpp v5.l, v1.l, v2.l, exec_hi quad_perm:[3,2,1,0] row_mask:0xf bank_mask:0xf ; encoding: [0x05,0x00,0x61,0xd6,0xfa,0x04,0xfe,0x01,0x01,0x1b,0x00,0xff]

v_minmax_f16_e64_dpp v5.l, v1.l, v2.l, exec_lo quad_perm:[3,2,1,0]
// GFX11: v_minmax_f16_e64_dpp v5.l, v1.l, v2.l, exec_lo quad_perm:[3,2,1,0] row_mask:0xf bank_mask:0xf ; encoding: [0x05,0x00,0x61,0xd6,0xfa,0x04,0xfa,0x01,0x01,0x1b,0x00,0xff]

v_minmax_f16_e64_dpp v5.l, v1.l, v2.l, m0 quad_perm:[3,2,1,0]
// GFX11: v_minmax_f16_e64_dpp v5.l, v1.l, v2.l, m0 quad_perm:[3,2,1,0] row_mask:0xf bank_mask:0xf ; encoding: [0x05,0x00,0x61,0xd6,0xfa,0x04,0xf6,0x01,0x01,0x1b,0x00,0xff]

v_minmax_f16_e64_dpp v5.l, v1.l, v2.l, null quad_perm:[3,2,1,0]
// GFX11: v_minmax_f16_e64_dpp v5.l, v1.l, v2.l, null quad_perm:[3,2,1,0] row_mask:0xf bank_mask:0xf ; encoding: [0x05,0x00,0x61,0xd6,0xfa,0x04,0xf2,0x01,0x01,0x1b,0x00,0xff]

v_minmax_f16_e64_dpp v5.l, v1.l, v2.l, s105 quad_perm:[3,2,1,0]
// GFX11: v_minmax_f16_e64_dpp v5.l, v1.l, v2.l, s105 quad_perm:[3,2,1,0] row_mask:0xf bank_mask:0xf ; encoding: [0x05,0x00,0x61,0xd6,0xfa,0x04,0xa6,0x01,0x01,0x1b,0x00,0xff]

v_minmax_f16_e64_dpp v5.l, v1.l, v2.l, s3 quad_perm:[3,2,1,0]
// GFX11: v_minmax_f16_e64_dpp v5.l, v1.l, v2.l, s3 quad_perm:[3,2,1,0] row_mask:0xf bank_mask:0xf ; encoding: [0x05,0x00,0x61,0xd6,0xfa,0x04,0x0e,0x00,0x01,0x1b,0x00,0xff]

v_minmax_f16_e64_dpp v5.l, v1.l, v2.l, src_scc quad_perm:[3,2,1,0]
// GFX11: v_minmax_f16_e64_dpp v5.l, v1.l, v2.l, src_scc quad_perm:[3,2,1,0] row_mask:0xf bank_mask:0xf ; encoding: [0x05,0x00,0x61,0xd6,0xfa,0x04,0xf6,0x03,0x01,0x1b,0x00,0xff]

v_minmax_f16_e64_dpp v5.l, v1.l, v2.l, ttmp15 quad_perm:[3,2,1,0]
// GFX11: v_minmax_f16_e64_dpp v5.l, v1.l, v2.l, ttmp15 quad_perm:[3,2,1,0] row_mask:0xf bank_mask:0xf ; encoding: [0x05,0x00,0x61,0xd6,0xfa,0x04,0xee,0x01,0x01,0x1b,0x00,0xff]

v_minmax_f16_e64_dpp v5.l, v1.l, v2.l, v255.h quad_perm:[3,2,1,0]
// GFX11: v_minmax_f16_e64_dpp v5.l, v1.l, v2.l, v255.h op_sel:[0,0,1,0] quad_perm:[3,2,1,0] row_mask:0xf bank_mask:0xf ; encoding: [0x05,0x20,0x61,0xd6,0xfa,0x04,0xfe,0x07,0x01,0x1b,0x00,0xff]

v_minmax_f16_e64_dpp v5.l, v1.l, v2.l, v255.l quad_perm:[3,2,1,0]
// GFX11: v_minmax_f16_e64_dpp v5.l, v1.l, v2.l, v255.l quad_perm:[3,2,1,0] row_mask:0xf bank_mask:0xf ; encoding: [0x05,0x00,0x61,0xd6,0xfa,0x04,0xfe,0x07,0x01,0x1b,0x00,0xff]

v_minmax_f16_e64_dpp v5.l, v1.l, v2.l, v3.h quad_perm:[3,2,1,0]
// GFX11: v_minmax_f16_e64_dpp v5.l, v1.l, v2.l, v3.h op_sel:[0,0,1,0] quad_perm:[3,2,1,0] row_mask:0xf bank_mask:0xf ; encoding: [0x05,0x20,0x61,0xd6,0xfa,0x04,0x0e,0x04,0x01,0x1b,0x00,0xff]

v_minmax_f16_e64_dpp v5.l, v1.l, v2.l, vcc_hi quad_perm:[3,2,1,0]
// GFX11: v_minmax_f16_e64_dpp v5.l, v1.l, v2.l, vcc_hi quad_perm:[3,2,1,0] row_mask:0xf bank_mask:0xf ; encoding: [0x05,0x00,0x61,0xd6,0xfa,0x04,0xae,0x01,0x01,0x1b,0x00,0xff]

v_minmax_f16_e64_dpp v5.l, v1.l, v2.l, vcc_lo quad_perm:[3,2,1,0]
// GFX11: v_minmax_f16_e64_dpp v5.l, v1.l, v2.l, vcc_lo quad_perm:[3,2,1,0] row_mask:0xf bank_mask:0xf ; encoding: [0x05,0x00,0x61,0xd6,0xfa,0x04,0xaa,0x01,0x01,0x1b,0x00,0xff]

v_minmax_f16_e64_dpp v5.l, v1.l, v2.l, -|0.5| quad_perm:[3,2,1,0]
// GFX11: v_minmax_f16_e64_dpp v5.l, v1.l, v2.l, -|0.5| quad_perm:[3,2,1,0] row_mask:0xf bank_mask:0xf ; encoding: [0x05,0x04,0x61,0xd6,0xfa,0x04,0xc2,0x83,0x01,0x1b,0x00,0xff]

v_minmax_f16_e64_dpp v5.l, v1.h, v2.l, v3.l op_sel:[1,0,0,0] quad_perm:[3,2,1,0]
// GFX11: v_minmax_f16_e64_dpp v5.l, v1.h, v2.l, v3.l op_sel:[1,0,0,0] quad_perm:[3,2,1,0] row_mask:0xf bank_mask:0xf ; encoding: [0x05,0x08,0x61,0xd6,0xfa,0x04,0x0e,0x04,0x01,0x1b,0x00,0xff]

v_minmax_f16_e64_dpp v5.l, v1.l, v2.h, v3.l op_sel:[0,1,0,0] quad_perm:[3,2,1,0]
// GFX11: v_minmax_f16_e64_dpp v5.l, v1.l, v2.h, v3.l op_sel:[0,1,0,0] quad_perm:[3,2,1,0] row_mask:0xf bank_mask:0xf ; encoding: [0x05,0x10,0x61,0xd6,0xfa,0x04,0x0e,0x04,0x01,0x1b,0x00,0xff]

v_minmax_f16_e64_dpp v5.l, v1.l, v2.l, v3.h op_sel:[0,0,1,0] quad_perm:[3,2,1,0]
// GFX11: v_minmax_f16_e64_dpp v5.l, v1.l, v2.l, v3.h op_sel:[0,0,1,0] quad_perm:[3,2,1,0] row_mask:0xf bank_mask:0xf ; encoding: [0x05,0x20,0x61,0xd6,0xfa,0x04,0x0e,0x04,0x01,0x1b,0x00,0xff]

v_minmax_f16_e64_dpp v5.l, v1.l, v2.l, v3.l quad_perm:[3,2,1,0] bound_ctrl:0
// GFX11: v_minmax_f16_e64_dpp v5.l, v1.l, v2.l, v3.l quad_perm:[3,2,1,0] row_mask:0xf bank_mask:0xf ; encoding: [0x05,0x00,0x61,0xd6,0xfa,0x04,0x0e,0x04,0x01,0x1b,0x00,0xff]

v_minmax_f16_e64_dpp v5.l, v1.l, v2.l, v3.l quad_perm:[3,2,1,0] bound_ctrl:1
// GFX11: v_minmax_f16_e64_dpp v5.l, v1.l, v2.l, v3.l quad_perm:[3,2,1,0] row_mask:0xf bank_mask:0xf bound_ctrl:1 ; encoding: [0x05,0x00,0x61,0xd6,0xfa,0x04,0x0e,0x04,0x01,0x1b,0x08,0xff]

v_minmax_f16_e64_dpp v5.l, v1.l, v2.l, v3.l quad_perm:[0,1,2,3]
// GFX11: v_minmax_f16_e64_dpp v5.l, v1.l, v2.l, v3.l quad_perm:[0,1,2,3] row_mask:0xf bank_mask:0xf ; encoding: [0x05,0x00,0x61,0xd6,0xfa,0x04,0x0e,0x04,0x01,0xe4,0x00,0xff]

v_minmax_f16_e64_dpp v5.l, v1.l, v2.l, v3.l row_half_mirror
// GFX11: v_minmax_f16_e64_dpp v5.l, v1.l, v2.l, v3.l row_half_mirror row_mask:0xf bank_mask:0xf ; encoding: [0x05,0x00,0x61,0xd6,0xfa,0x04,0x0e,0x04,0x01,0x41,0x01,0xff]

v_minmax_f16_e64_dpp v5.l, v1.l, v2.l, v3.l row_mirror
// GFX11: v_minmax_f16_e64_dpp v5.l, v1.l, v2.l, v3.l row_mirror row_mask:0xf bank_mask:0xf ; encoding: [0x05,0x00,0x61,0xd6,0xfa,0x04,0x0e,0x04,0x01,0x40,0x01,0xff]

v_minmax_f16_e64_dpp v5.l, v1.l, v2.l, v3.l row_ror:1
// GFX11: v_minmax_f16_e64_dpp v5.l, v1.l, v2.l, v3.l row_ror:1 row_mask:0xf bank_mask:0xf ; encoding: [0x05,0x00,0x61,0xd6,0xfa,0x04,0x0e,0x04,0x01,0x21,0x01,0xff]

v_minmax_f16_e64_dpp v5.l, v1.l, v2.l, v3.l row_ror:15
// GFX11: v_minmax_f16_e64_dpp v5.l, v1.l, v2.l, v3.l row_ror:15 row_mask:0xf bank_mask:0xf ; encoding: [0x05,0x00,0x61,0xd6,0xfa,0x04,0x0e,0x04,0x01,0x2f,0x01,0xff]

v_minmax_f16_e64_dpp v5.l, v1.l, v2.l, v3.l row_share:0
// GFX11: v_minmax_f16_e64_dpp v5.l, v1.l, v2.l, v3.l row_share:0 row_mask:0xf bank_mask:0xf ; encoding: [0x05,0x00,0x61,0xd6,0xfa,0x04,0x0e,0x04,0x01,0x50,0x01,0xff]

v_minmax_f16_e64_dpp v5.l, v1.l, v2.l, v3.l row_share:15
// GFX11: v_minmax_f16_e64_dpp v5.l, v1.l, v2.l, v3.l row_share:15 row_mask:0xf bank_mask:0xf ; encoding: [0x05,0x00,0x61,0xd6,0xfa,0x04,0x0e,0x04,0x01,0x5f,0x01,0xff]

v_minmax_f16_e64_dpp v5.l, v1.l, v2.l, v3.l row_shl:1
// GFX11: v_minmax_f16_e64_dpp v5.l, v1.l, v2.l, v3.l row_shl:1 row_mask:0xf bank_mask:0xf ; encoding: [0x05,0x00,0x61,0xd6,0xfa,0x04,0x0e,0x04,0x01,0x01,0x01,0xff]

v_minmax_f16_e64_dpp v5.l, v1.l, v2.l, v3.l row_shl:15
// GFX11: v_minmax_f16_e64_dpp v5.l, v1.l, v2.l, v3.l row_shl:15 row_mask:0xf bank_mask:0xf ; encoding: [0x05,0x00,0x61,0xd6,0xfa,0x04,0x0e,0x04,0x01,0x0f,0x01,0xff]

v_minmax_f16_e64_dpp v5.l, v1.l, v2.l, v3.l row_shr:1
// GFX11: v_minmax_f16_e64_dpp v5.l, v1.l, v2.l, v3.l row_shr:1 row_mask:0xf bank_mask:0xf ; encoding: [0x05,0x00,0x61,0xd6,0xfa,0x04,0x0e,0x04,0x01,0x11,0x01,0xff]

v_minmax_f16_e64_dpp v5.l, v1.l, v2.l, v3.l row_shr:15
// GFX11: v_minmax_f16_e64_dpp v5.l, v1.l, v2.l, v3.l row_shr:15 row_mask:0xf bank_mask:0xf ; encoding: [0x05,0x00,0x61,0xd6,0xfa,0x04,0x0e,0x04,0x01,0x1f,0x01,0xff]

v_minmax_f16_e64_dpp v5.l, v1.l, v2.l, v3.l row_xmask:0
// GFX11: v_minmax_f16_e64_dpp v5.l, v1.l, v2.l, v3.l row_xmask:0 row_mask:0xf bank_mask:0xf ; encoding: [0x05,0x00,0x61,0xd6,0xfa,0x04,0x0e,0x04,0x01,0x60,0x01,0xff]

v_minmax_f16_e64_dpp v5.l, v1.l, v2.l, v3.l row_xmask:15
// GFX11: v_minmax_f16_e64_dpp v5.l, v1.l, v2.l, v3.l row_xmask:15 row_mask:0xf bank_mask:0xf ; encoding: [0x05,0x00,0x61,0xd6,0xfa,0x04,0x0e,0x04,0x01,0x6f,0x01,0xff]

v_minmax_f16_e64_dpp v5.l, v1.l, v2.l, v3.l quad_perm:[3,2,1,0] fi:0
// GFX11: v_minmax_f16_e64_dpp v5.l, v1.l, v2.l, v3.l quad_perm:[3,2,1,0] row_mask:0xf bank_mask:0xf ; encoding: [0x05,0x00,0x61,0xd6,0xfa,0x04,0x0e,0x04,0x01,0x1b,0x00,0xff]

v_minmax_f16_e64_dpp v5.l, v1.l, v2.l, v3.l quad_perm:[3,2,1,0] fi:1
// GFX11: v_minmax_f16_e64_dpp v5.l, v1.l, v2.l, v3.l quad_perm:[3,2,1,0] row_mask:0xf bank_mask:0xf fi:1 ; encoding: [0x05,0x00,0x61,0xd6,0xfa,0x04,0x0e,0x04,0x01,0x1b,0x04,0xff]

v_minmax_f16_e64_dpp v5.l, v1.l, v2.l, v3.l div:2 quad_perm:[3,2,1,0]
// GFX11: v_minmax_f16_e64_dpp v5.l, v1.l, v2.l, v3.l div:2 quad_perm:[3,2,1,0] row_mask:0xf bank_mask:0xf ; encoding: [0x05,0x00,0x61,0xd6,0xfa,0x04,0x0e,0x1c,0x01,0x1b,0x00,0xff]

v_minmax_f16_e64_dpp v5.l, v1.l, v2.l, v3.l mul:2 quad_perm:[3,2,1,0]
// GFX11: v_minmax_f16_e64_dpp v5.l, v1.l, v2.l, v3.l mul:2 quad_perm:[3,2,1,0] row_mask:0xf bank_mask:0xf ; encoding: [0x05,0x00,0x61,0xd6,0xfa,0x04,0x0e,0x0c,0x01,0x1b,0x00,0xff]

v_minmax_f16_e64_dpp v5.l, v1.l, v2.l, v3.l mul:4 quad_perm:[3,2,1,0]
// GFX11: v_minmax_f16_e64_dpp v5.l, v1.l, v2.l, v3.l mul:4 quad_perm:[3,2,1,0] row_mask:0xf bank_mask:0xf ; encoding: [0x05,0x00,0x61,0xd6,0xfa,0x04,0x0e,0x14,0x01,0x1b,0x00,0xff]

v_minmax_f16_e64_dpp v5.l, v1.l, v2.l, v3.l quad_perm:[3,2,1,0] row_mask:0x0 bank_mask:0x1
// GFX11: v_minmax_f16_e64_dpp v5.l, v1.l, v2.l, v3.l quad_perm:[3,2,1,0] row_mask:0x0 bank_mask:0x1 ; encoding: [0x05,0x00,0x61,0xd6,0xfa,0x04,0x0e,0x04,0x01,0x1b,0x00,0x01]

v_minmax_f16_e64_dpp v5.l, v1.l, v2.l, v3.l quad_perm:[3,2,1,0] row_mask:0x3 bank_mask:0x0
// GFX11: v_minmax_f16_e64_dpp v5.l, v1.l, v2.l, v3.l quad_perm:[3,2,1,0] row_mask:0x3 bank_mask:0x0 ; encoding: [0x05,0x00,0x61,0xd6,0xfa,0x04,0x0e,0x04,0x01,0x1b,0x00,0x30]
	;; [unrolled: 3-line block ×3, first 2 shown]

v_minmax_f16_e64_dpp v5.l, v1.l, v2.l, v3.l clamp quad_perm:[3,2,1,0]
// GFX11: v_minmax_f16_e64_dpp v5.l, v1.l, v2.l, v3.l clamp quad_perm:[3,2,1,0] row_mask:0xf bank_mask:0xf ; encoding: [0x05,0x80,0x61,0xd6,0xfa,0x04,0x0e,0x04,0x01,0x1b,0x00,0xff]

v_minmax_f32_e64_dpp v5, v1, v2, v3 quad_perm:[3,2,1,0]
// GFX11: v_minmax_f32_e64_dpp v5, v1, v2, v3 quad_perm:[3,2,1,0] row_mask:0xf bank_mask:0xf ; encoding: [0x05,0x00,0x5f,0xd6,0xfa,0x04,0x0e,0x04,0x01,0x1b,0x00,0xff]

v_minmax_f32_e64_dpp v255, v255, v255, v255 quad_perm:[3,2,1,0]
// GFX11: v_minmax_f32_e64_dpp v255, v255, v255, v255 quad_perm:[3,2,1,0] row_mask:0xf bank_mask:0xf ; encoding: [0xff,0x00,0x5f,0xd6,0xfa,0xfe,0xff,0x07,0xff,0x1b,0x00,0xff]

v_minmax_f32_e64_dpp v5, -v7, v2, v3 quad_perm:[3,2,1,0]
// GFX11: v_minmax_f32_e64_dpp v5, -v7, v2, v3 quad_perm:[3,2,1,0] row_mask:0xf bank_mask:0xf ; encoding: [0x05,0x00,0x5f,0xd6,0xfa,0x04,0x0e,0x24,0x07,0x1b,0x00,0xff]

v_minmax_f32_e64_dpp v5, |v7|, v2, v3 quad_perm:[3,2,1,0]
// GFX11: v_minmax_f32_e64_dpp v5, |v7|, v2, v3 quad_perm:[3,2,1,0] row_mask:0xf bank_mask:0xf ; encoding: [0x05,0x01,0x5f,0xd6,0xfa,0x04,0x0e,0x04,0x07,0x1b,0x00,0xff]

v_minmax_f32_e64_dpp v5, -|v7|, v2, v3 quad_perm:[3,2,1,0]
// GFX11: v_minmax_f32_e64_dpp v5, -|v7|, v2, v3 quad_perm:[3,2,1,0] row_mask:0xf bank_mask:0xf ; encoding: [0x05,0x01,0x5f,0xd6,0xfa,0x04,0x0e,0x24,0x07,0x1b,0x00,0xff]

v_minmax_f32_e64_dpp v5, v1, -v7, v3 quad_perm:[3,2,1,0]
// GFX11: v_minmax_f32_e64_dpp v5, v1, -v7, v3 quad_perm:[3,2,1,0] row_mask:0xf bank_mask:0xf ; encoding: [0x05,0x00,0x5f,0xd6,0xfa,0x0e,0x0e,0x44,0x01,0x1b,0x00,0xff]

v_minmax_f32_e64_dpp v5, v1, |v7|, v3 quad_perm:[3,2,1,0]
// GFX11: v_minmax_f32_e64_dpp v5, v1, |v7|, v3 quad_perm:[3,2,1,0] row_mask:0xf bank_mask:0xf ; encoding: [0x05,0x02,0x5f,0xd6,0xfa,0x0e,0x0e,0x04,0x01,0x1b,0x00,0xff]

v_minmax_f32_e64_dpp v5, v1, -|v7|, v3 quad_perm:[3,2,1,0]
// GFX11: v_minmax_f32_e64_dpp v5, v1, -|v7|, v3 quad_perm:[3,2,1,0] row_mask:0xf bank_mask:0xf ; encoding: [0x05,0x02,0x5f,0xd6,0xfa,0x0e,0x0e,0x44,0x01,0x1b,0x00,0xff]

v_minmax_f32_e64_dpp v5, v1, v2, -1 quad_perm:[3,2,1,0]
// GFX11: v_minmax_f32_e64_dpp v5, v1, v2, -1 quad_perm:[3,2,1,0] row_mask:0xf bank_mask:0xf ; encoding: [0x05,0x00,0x5f,0xd6,0xfa,0x04,0x06,0x03,0x01,0x1b,0x00,0xff]

v_minmax_f32_e64_dpp v5, v1, v2, 0.5 quad_perm:[3,2,1,0]
// GFX11: v_minmax_f32_e64_dpp v5, v1, v2, 0.5 quad_perm:[3,2,1,0] row_mask:0xf bank_mask:0xf ; encoding: [0x05,0x00,0x5f,0xd6,0xfa,0x04,0xc2,0x03,0x01,0x1b,0x00,0xff]

v_minmax_f32_e64_dpp v5, v1, v2, exec_hi quad_perm:[3,2,1,0]
// GFX11: v_minmax_f32_e64_dpp v5, v1, v2, exec_hi quad_perm:[3,2,1,0] row_mask:0xf bank_mask:0xf ; encoding: [0x05,0x00,0x5f,0xd6,0xfa,0x04,0xfe,0x01,0x01,0x1b,0x00,0xff]

v_minmax_f32_e64_dpp v5, v1, v2, exec_lo quad_perm:[3,2,1,0]
// GFX11: v_minmax_f32_e64_dpp v5, v1, v2, exec_lo quad_perm:[3,2,1,0] row_mask:0xf bank_mask:0xf ; encoding: [0x05,0x00,0x5f,0xd6,0xfa,0x04,0xfa,0x01,0x01,0x1b,0x00,0xff]

v_minmax_f32_e64_dpp v5, v1, v2, m0 quad_perm:[3,2,1,0]
// GFX11: v_minmax_f32_e64_dpp v5, v1, v2, m0 quad_perm:[3,2,1,0] row_mask:0xf bank_mask:0xf ; encoding: [0x05,0x00,0x5f,0xd6,0xfa,0x04,0xf6,0x01,0x01,0x1b,0x00,0xff]

v_minmax_f32_e64_dpp v5, v1, v2, null quad_perm:[3,2,1,0]
// GFX11: v_minmax_f32_e64_dpp v5, v1, v2, null quad_perm:[3,2,1,0] row_mask:0xf bank_mask:0xf ; encoding: [0x05,0x00,0x5f,0xd6,0xfa,0x04,0xf2,0x01,0x01,0x1b,0x00,0xff]

v_minmax_f32_e64_dpp v5, v1, v2, s105 quad_perm:[3,2,1,0]
// GFX11: v_minmax_f32_e64_dpp v5, v1, v2, s105 quad_perm:[3,2,1,0] row_mask:0xf bank_mask:0xf ; encoding: [0x05,0x00,0x5f,0xd6,0xfa,0x04,0xa6,0x01,0x01,0x1b,0x00,0xff]

v_minmax_f32_e64_dpp v5, v1, v2, s3 quad_perm:[3,2,1,0]
// GFX11: v_minmax_f32_e64_dpp v5, v1, v2, s3 quad_perm:[3,2,1,0] row_mask:0xf bank_mask:0xf ; encoding: [0x05,0x00,0x5f,0xd6,0xfa,0x04,0x0e,0x00,0x01,0x1b,0x00,0xff]

v_minmax_f32_e64_dpp v5, v1, v2, src_scc quad_perm:[3,2,1,0]
// GFX11: v_minmax_f32_e64_dpp v5, v1, v2, src_scc quad_perm:[3,2,1,0] row_mask:0xf bank_mask:0xf ; encoding: [0x05,0x00,0x5f,0xd6,0xfa,0x04,0xf6,0x03,0x01,0x1b,0x00,0xff]

v_minmax_f32_e64_dpp v5, v1, v2, ttmp15 quad_perm:[3,2,1,0]
// GFX11: v_minmax_f32_e64_dpp v5, v1, v2, ttmp15 quad_perm:[3,2,1,0] row_mask:0xf bank_mask:0xf ; encoding: [0x05,0x00,0x5f,0xd6,0xfa,0x04,0xee,0x01,0x01,0x1b,0x00,0xff]

v_minmax_f32_e64_dpp v5, v1, v2, v255 quad_perm:[3,2,1,0]
// GFX11: v_minmax_f32_e64_dpp v5, v1, v2, v255 quad_perm:[3,2,1,0] row_mask:0xf bank_mask:0xf ; encoding: [0x05,0x00,0x5f,0xd6,0xfa,0x04,0xfe,0x07,0x01,0x1b,0x00,0xff]

v_minmax_f32_e64_dpp v5, v1, v2, vcc_hi quad_perm:[3,2,1,0]
// GFX11: v_minmax_f32_e64_dpp v5, v1, v2, vcc_hi quad_perm:[3,2,1,0] row_mask:0xf bank_mask:0xf ; encoding: [0x05,0x00,0x5f,0xd6,0xfa,0x04,0xae,0x01,0x01,0x1b,0x00,0xff]

v_minmax_f32_e64_dpp v5, v1, v2, vcc_lo quad_perm:[3,2,1,0]
// GFX11: v_minmax_f32_e64_dpp v5, v1, v2, vcc_lo quad_perm:[3,2,1,0] row_mask:0xf bank_mask:0xf ; encoding: [0x05,0x00,0x5f,0xd6,0xfa,0x04,0xaa,0x01,0x01,0x1b,0x00,0xff]

v_minmax_f32_e64_dpp v5, v1, v2, -|0.5| quad_perm:[3,2,1,0]
// GFX11: v_minmax_f32_e64_dpp v5, v1, v2, -|0.5| quad_perm:[3,2,1,0] row_mask:0xf bank_mask:0xf ; encoding: [0x05,0x04,0x5f,0xd6,0xfa,0x04,0xc2,0x83,0x01,0x1b,0x00,0xff]

v_minmax_f32_e64_dpp v5, v1, v2, v3 quad_perm:[3,2,1,0] bound_ctrl:0
// GFX11: v_minmax_f32_e64_dpp v5, v1, v2, v3 quad_perm:[3,2,1,0] row_mask:0xf bank_mask:0xf ; encoding: [0x05,0x00,0x5f,0xd6,0xfa,0x04,0x0e,0x04,0x01,0x1b,0x00,0xff]

v_minmax_f32_e64_dpp v5, v1, v2, v3 quad_perm:[3,2,1,0] bound_ctrl:1
// GFX11: v_minmax_f32_e64_dpp v5, v1, v2, v3 quad_perm:[3,2,1,0] row_mask:0xf bank_mask:0xf bound_ctrl:1 ; encoding: [0x05,0x00,0x5f,0xd6,0xfa,0x04,0x0e,0x04,0x01,0x1b,0x08,0xff]

v_minmax_f32_e64_dpp v5, v1, v2, v3 quad_perm:[0,1,2,3]
// GFX11: v_minmax_f32_e64_dpp v5, v1, v2, v3 quad_perm:[0,1,2,3] row_mask:0xf bank_mask:0xf ; encoding: [0x05,0x00,0x5f,0xd6,0xfa,0x04,0x0e,0x04,0x01,0xe4,0x00,0xff]

v_minmax_f32_e64_dpp v5, v1, v2, v3 row_half_mirror
// GFX11: v_minmax_f32_e64_dpp v5, v1, v2, v3 row_half_mirror row_mask:0xf bank_mask:0xf ; encoding: [0x05,0x00,0x5f,0xd6,0xfa,0x04,0x0e,0x04,0x01,0x41,0x01,0xff]

v_minmax_f32_e64_dpp v5, v1, v2, v3 row_mirror
// GFX11: v_minmax_f32_e64_dpp v5, v1, v2, v3 row_mirror row_mask:0xf bank_mask:0xf ; encoding: [0x05,0x00,0x5f,0xd6,0xfa,0x04,0x0e,0x04,0x01,0x40,0x01,0xff]

v_minmax_f32_e64_dpp v5, v1, v2, v3 row_ror:1
// GFX11: v_minmax_f32_e64_dpp v5, v1, v2, v3 row_ror:1 row_mask:0xf bank_mask:0xf ; encoding: [0x05,0x00,0x5f,0xd6,0xfa,0x04,0x0e,0x04,0x01,0x21,0x01,0xff]

v_minmax_f32_e64_dpp v5, v1, v2, v3 row_ror:15
// GFX11: v_minmax_f32_e64_dpp v5, v1, v2, v3 row_ror:15 row_mask:0xf bank_mask:0xf ; encoding: [0x05,0x00,0x5f,0xd6,0xfa,0x04,0x0e,0x04,0x01,0x2f,0x01,0xff]

v_minmax_f32_e64_dpp v5, v1, v2, v3 row_share:0
// GFX11: v_minmax_f32_e64_dpp v5, v1, v2, v3 row_share:0 row_mask:0xf bank_mask:0xf ; encoding: [0x05,0x00,0x5f,0xd6,0xfa,0x04,0x0e,0x04,0x01,0x50,0x01,0xff]

v_minmax_f32_e64_dpp v5, v1, v2, v3 row_share:15
// GFX11: v_minmax_f32_e64_dpp v5, v1, v2, v3 row_share:15 row_mask:0xf bank_mask:0xf ; encoding: [0x05,0x00,0x5f,0xd6,0xfa,0x04,0x0e,0x04,0x01,0x5f,0x01,0xff]

v_minmax_f32_e64_dpp v5, v1, v2, v3 row_shl:1
// GFX11: v_minmax_f32_e64_dpp v5, v1, v2, v3 row_shl:1 row_mask:0xf bank_mask:0xf ; encoding: [0x05,0x00,0x5f,0xd6,0xfa,0x04,0x0e,0x04,0x01,0x01,0x01,0xff]

v_minmax_f32_e64_dpp v5, v1, v2, v3 row_shl:15
// GFX11: v_minmax_f32_e64_dpp v5, v1, v2, v3 row_shl:15 row_mask:0xf bank_mask:0xf ; encoding: [0x05,0x00,0x5f,0xd6,0xfa,0x04,0x0e,0x04,0x01,0x0f,0x01,0xff]

v_minmax_f32_e64_dpp v5, v1, v2, v3 row_shr:1
// GFX11: v_minmax_f32_e64_dpp v5, v1, v2, v3 row_shr:1 row_mask:0xf bank_mask:0xf ; encoding: [0x05,0x00,0x5f,0xd6,0xfa,0x04,0x0e,0x04,0x01,0x11,0x01,0xff]

v_minmax_f32_e64_dpp v5, v1, v2, v3 row_shr:15
// GFX11: v_minmax_f32_e64_dpp v5, v1, v2, v3 row_shr:15 row_mask:0xf bank_mask:0xf ; encoding: [0x05,0x00,0x5f,0xd6,0xfa,0x04,0x0e,0x04,0x01,0x1f,0x01,0xff]

v_minmax_f32_e64_dpp v5, v1, v2, v3 row_xmask:0
// GFX11: v_minmax_f32_e64_dpp v5, v1, v2, v3 row_xmask:0 row_mask:0xf bank_mask:0xf ; encoding: [0x05,0x00,0x5f,0xd6,0xfa,0x04,0x0e,0x04,0x01,0x60,0x01,0xff]

v_minmax_f32_e64_dpp v5, v1, v2, v3 row_xmask:15
// GFX11: v_minmax_f32_e64_dpp v5, v1, v2, v3 row_xmask:15 row_mask:0xf bank_mask:0xf ; encoding: [0x05,0x00,0x5f,0xd6,0xfa,0x04,0x0e,0x04,0x01,0x6f,0x01,0xff]

v_minmax_f32_e64_dpp v5, v1, v2, v3 quad_perm:[3,2,1,0] fi:0
// GFX11: v_minmax_f32_e64_dpp v5, v1, v2, v3 quad_perm:[3,2,1,0] row_mask:0xf bank_mask:0xf ; encoding: [0x05,0x00,0x5f,0xd6,0xfa,0x04,0x0e,0x04,0x01,0x1b,0x00,0xff]

v_minmax_f32_e64_dpp v5, v1, v2, v3 quad_perm:[3,2,1,0] fi:1
// GFX11: v_minmax_f32_e64_dpp v5, v1, v2, v3 quad_perm:[3,2,1,0] row_mask:0xf bank_mask:0xf fi:1 ; encoding: [0x05,0x00,0x5f,0xd6,0xfa,0x04,0x0e,0x04,0x01,0x1b,0x04,0xff]

v_minmax_f32_e64_dpp v5, v1, v2, v3 div:2 quad_perm:[3,2,1,0]
// GFX11: v_minmax_f32_e64_dpp v5, v1, v2, v3 div:2 quad_perm:[3,2,1,0] row_mask:0xf bank_mask:0xf ; encoding: [0x05,0x00,0x5f,0xd6,0xfa,0x04,0x0e,0x1c,0x01,0x1b,0x00,0xff]

v_minmax_f32_e64_dpp v5, v1, v2, v3 mul:2 quad_perm:[3,2,1,0]
// GFX11: v_minmax_f32_e64_dpp v5, v1, v2, v3 mul:2 quad_perm:[3,2,1,0] row_mask:0xf bank_mask:0xf ; encoding: [0x05,0x00,0x5f,0xd6,0xfa,0x04,0x0e,0x0c,0x01,0x1b,0x00,0xff]

v_minmax_f32_e64_dpp v5, v1, v2, v3 mul:4 quad_perm:[3,2,1,0]
// GFX11: v_minmax_f32_e64_dpp v5, v1, v2, v3 mul:4 quad_perm:[3,2,1,0] row_mask:0xf bank_mask:0xf ; encoding: [0x05,0x00,0x5f,0xd6,0xfa,0x04,0x0e,0x14,0x01,0x1b,0x00,0xff]

v_minmax_f32_e64_dpp v5, v1, v2, v3 quad_perm:[3,2,1,0] row_mask:0x0 bank_mask:0x1
// GFX11: v_minmax_f32_e64_dpp v5, v1, v2, v3 quad_perm:[3,2,1,0] row_mask:0x0 bank_mask:0x1 ; encoding: [0x05,0x00,0x5f,0xd6,0xfa,0x04,0x0e,0x04,0x01,0x1b,0x00,0x01]

v_minmax_f32_e64_dpp v5, v1, v2, v3 quad_perm:[3,2,1,0] row_mask:0x3 bank_mask:0x0
// GFX11: v_minmax_f32_e64_dpp v5, v1, v2, v3 quad_perm:[3,2,1,0] row_mask:0x3 bank_mask:0x0 ; encoding: [0x05,0x00,0x5f,0xd6,0xfa,0x04,0x0e,0x04,0x01,0x1b,0x00,0x30]
	;; [unrolled: 3-line block ×3, first 2 shown]

v_minmax_f32_e64_dpp v5, v1, v2, v3 clamp quad_perm:[3,2,1,0]
// GFX11: v_minmax_f32_e64_dpp v5, v1, v2, v3 clamp quad_perm:[3,2,1,0] row_mask:0xf bank_mask:0xf ; encoding: [0x05,0x80,0x5f,0xd6,0xfa,0x04,0x0e,0x04,0x01,0x1b,0x00,0xff]

v_minmax_i32_e64_dpp v5, v1, v2, v3 quad_perm:[3,2,1,0]
// GFX11: v_minmax_i32_e64_dpp v5, v1, v2, v3 quad_perm:[3,2,1,0] row_mask:0xf bank_mask:0xf ; encoding: [0x05,0x00,0x65,0xd6,0xfa,0x04,0x0e,0x04,0x01,0x1b,0x00,0xff]

v_minmax_i32_e64_dpp v255, v255, v255, v255 quad_perm:[3,2,1,0]
// GFX11: v_minmax_i32_e64_dpp v255, v255, v255, v255 quad_perm:[3,2,1,0] row_mask:0xf bank_mask:0xf ; encoding: [0xff,0x00,0x65,0xd6,0xfa,0xfe,0xff,0x07,0xff,0x1b,0x00,0xff]

v_minmax_i32_e64_dpp v5, v1, v2, -1 quad_perm:[3,2,1,0]
// GFX11: v_minmax_i32_e64_dpp v5, v1, v2, -1 quad_perm:[3,2,1,0] row_mask:0xf bank_mask:0xf ; encoding: [0x05,0x00,0x65,0xd6,0xfa,0x04,0x06,0x03,0x01,0x1b,0x00,0xff]

v_minmax_i32_e64_dpp v5, v1, v2, 0.5 quad_perm:[3,2,1,0]
// GFX11: v_minmax_i32_e64_dpp v5, v1, v2, 0.5 quad_perm:[3,2,1,0] row_mask:0xf bank_mask:0xf ; encoding: [0x05,0x00,0x65,0xd6,0xfa,0x04,0xc2,0x03,0x01,0x1b,0x00,0xff]

v_minmax_i32_e64_dpp v5, v1, v2, exec_hi quad_perm:[3,2,1,0]
// GFX11: v_minmax_i32_e64_dpp v5, v1, v2, exec_hi quad_perm:[3,2,1,0] row_mask:0xf bank_mask:0xf ; encoding: [0x05,0x00,0x65,0xd6,0xfa,0x04,0xfe,0x01,0x01,0x1b,0x00,0xff]

v_minmax_i32_e64_dpp v5, v1, v2, exec_lo quad_perm:[3,2,1,0]
// GFX11: v_minmax_i32_e64_dpp v5, v1, v2, exec_lo quad_perm:[3,2,1,0] row_mask:0xf bank_mask:0xf ; encoding: [0x05,0x00,0x65,0xd6,0xfa,0x04,0xfa,0x01,0x01,0x1b,0x00,0xff]

v_minmax_i32_e64_dpp v5, v1, v2, m0 quad_perm:[3,2,1,0]
// GFX11: v_minmax_i32_e64_dpp v5, v1, v2, m0 quad_perm:[3,2,1,0] row_mask:0xf bank_mask:0xf ; encoding: [0x05,0x00,0x65,0xd6,0xfa,0x04,0xf6,0x01,0x01,0x1b,0x00,0xff]

v_minmax_i32_e64_dpp v5, v1, v2, null quad_perm:[3,2,1,0]
// GFX11: v_minmax_i32_e64_dpp v5, v1, v2, null quad_perm:[3,2,1,0] row_mask:0xf bank_mask:0xf ; encoding: [0x05,0x00,0x65,0xd6,0xfa,0x04,0xf2,0x01,0x01,0x1b,0x00,0xff]

v_minmax_i32_e64_dpp v5, v1, v2, s105 quad_perm:[3,2,1,0]
// GFX11: v_minmax_i32_e64_dpp v5, v1, v2, s105 quad_perm:[3,2,1,0] row_mask:0xf bank_mask:0xf ; encoding: [0x05,0x00,0x65,0xd6,0xfa,0x04,0xa6,0x01,0x01,0x1b,0x00,0xff]

v_minmax_i32_e64_dpp v5, v1, v2, s3 quad_perm:[3,2,1,0]
// GFX11: v_minmax_i32_e64_dpp v5, v1, v2, s3 quad_perm:[3,2,1,0] row_mask:0xf bank_mask:0xf ; encoding: [0x05,0x00,0x65,0xd6,0xfa,0x04,0x0e,0x00,0x01,0x1b,0x00,0xff]

v_minmax_i32_e64_dpp v5, v1, v2, src_scc quad_perm:[3,2,1,0]
// GFX11: v_minmax_i32_e64_dpp v5, v1, v2, src_scc quad_perm:[3,2,1,0] row_mask:0xf bank_mask:0xf ; encoding: [0x05,0x00,0x65,0xd6,0xfa,0x04,0xf6,0x03,0x01,0x1b,0x00,0xff]

v_minmax_i32_e64_dpp v5, v1, v2, ttmp15 quad_perm:[3,2,1,0]
// GFX11: v_minmax_i32_e64_dpp v5, v1, v2, ttmp15 quad_perm:[3,2,1,0] row_mask:0xf bank_mask:0xf ; encoding: [0x05,0x00,0x65,0xd6,0xfa,0x04,0xee,0x01,0x01,0x1b,0x00,0xff]

v_minmax_i32_e64_dpp v5, v1, v2, v255 quad_perm:[3,2,1,0]
// GFX11: v_minmax_i32_e64_dpp v5, v1, v2, v255 quad_perm:[3,2,1,0] row_mask:0xf bank_mask:0xf ; encoding: [0x05,0x00,0x65,0xd6,0xfa,0x04,0xfe,0x07,0x01,0x1b,0x00,0xff]

v_minmax_i32_e64_dpp v5, v1, v2, vcc_hi quad_perm:[3,2,1,0]
// GFX11: v_minmax_i32_e64_dpp v5, v1, v2, vcc_hi quad_perm:[3,2,1,0] row_mask:0xf bank_mask:0xf ; encoding: [0x05,0x00,0x65,0xd6,0xfa,0x04,0xae,0x01,0x01,0x1b,0x00,0xff]

v_minmax_i32_e64_dpp v5, v1, v2, vcc_lo quad_perm:[3,2,1,0]
// GFX11: v_minmax_i32_e64_dpp v5, v1, v2, vcc_lo quad_perm:[3,2,1,0] row_mask:0xf bank_mask:0xf ; encoding: [0x05,0x00,0x65,0xd6,0xfa,0x04,0xaa,0x01,0x01,0x1b,0x00,0xff]

v_minmax_i32_e64_dpp v5, v1, v2, v3 quad_perm:[3,2,1,0] bound_ctrl:0
// GFX11: v_minmax_i32_e64_dpp v5, v1, v2, v3 quad_perm:[3,2,1,0] row_mask:0xf bank_mask:0xf ; encoding: [0x05,0x00,0x65,0xd6,0xfa,0x04,0x0e,0x04,0x01,0x1b,0x00,0xff]

v_minmax_i32_e64_dpp v5, v1, v2, v3 quad_perm:[3,2,1,0] bound_ctrl:1
// GFX11: v_minmax_i32_e64_dpp v5, v1, v2, v3 quad_perm:[3,2,1,0] row_mask:0xf bank_mask:0xf bound_ctrl:1 ; encoding: [0x05,0x00,0x65,0xd6,0xfa,0x04,0x0e,0x04,0x01,0x1b,0x08,0xff]

v_minmax_i32_e64_dpp v5, v1, v2, v3 quad_perm:[0,1,2,3]
// GFX11: v_minmax_i32_e64_dpp v5, v1, v2, v3 quad_perm:[0,1,2,3] row_mask:0xf bank_mask:0xf ; encoding: [0x05,0x00,0x65,0xd6,0xfa,0x04,0x0e,0x04,0x01,0xe4,0x00,0xff]

v_minmax_i32_e64_dpp v5, v1, v2, v3 row_half_mirror
// GFX11: v_minmax_i32_e64_dpp v5, v1, v2, v3 row_half_mirror row_mask:0xf bank_mask:0xf ; encoding: [0x05,0x00,0x65,0xd6,0xfa,0x04,0x0e,0x04,0x01,0x41,0x01,0xff]

v_minmax_i32_e64_dpp v5, v1, v2, v3 row_mirror
// GFX11: v_minmax_i32_e64_dpp v5, v1, v2, v3 row_mirror row_mask:0xf bank_mask:0xf ; encoding: [0x05,0x00,0x65,0xd6,0xfa,0x04,0x0e,0x04,0x01,0x40,0x01,0xff]

v_minmax_i32_e64_dpp v5, v1, v2, v3 row_ror:1
// GFX11: v_minmax_i32_e64_dpp v5, v1, v2, v3 row_ror:1 row_mask:0xf bank_mask:0xf ; encoding: [0x05,0x00,0x65,0xd6,0xfa,0x04,0x0e,0x04,0x01,0x21,0x01,0xff]

v_minmax_i32_e64_dpp v5, v1, v2, v3 row_ror:15
// GFX11: v_minmax_i32_e64_dpp v5, v1, v2, v3 row_ror:15 row_mask:0xf bank_mask:0xf ; encoding: [0x05,0x00,0x65,0xd6,0xfa,0x04,0x0e,0x04,0x01,0x2f,0x01,0xff]

v_minmax_i32_e64_dpp v5, v1, v2, v3 row_share:0
// GFX11: v_minmax_i32_e64_dpp v5, v1, v2, v3 row_share:0 row_mask:0xf bank_mask:0xf ; encoding: [0x05,0x00,0x65,0xd6,0xfa,0x04,0x0e,0x04,0x01,0x50,0x01,0xff]

v_minmax_i32_e64_dpp v5, v1, v2, v3 row_share:15
// GFX11: v_minmax_i32_e64_dpp v5, v1, v2, v3 row_share:15 row_mask:0xf bank_mask:0xf ; encoding: [0x05,0x00,0x65,0xd6,0xfa,0x04,0x0e,0x04,0x01,0x5f,0x01,0xff]

v_minmax_i32_e64_dpp v5, v1, v2, v3 row_shl:1
// GFX11: v_minmax_i32_e64_dpp v5, v1, v2, v3 row_shl:1 row_mask:0xf bank_mask:0xf ; encoding: [0x05,0x00,0x65,0xd6,0xfa,0x04,0x0e,0x04,0x01,0x01,0x01,0xff]

v_minmax_i32_e64_dpp v5, v1, v2, v3 row_shl:15
// GFX11: v_minmax_i32_e64_dpp v5, v1, v2, v3 row_shl:15 row_mask:0xf bank_mask:0xf ; encoding: [0x05,0x00,0x65,0xd6,0xfa,0x04,0x0e,0x04,0x01,0x0f,0x01,0xff]

v_minmax_i32_e64_dpp v5, v1, v2, v3 row_shr:1
// GFX11: v_minmax_i32_e64_dpp v5, v1, v2, v3 row_shr:1 row_mask:0xf bank_mask:0xf ; encoding: [0x05,0x00,0x65,0xd6,0xfa,0x04,0x0e,0x04,0x01,0x11,0x01,0xff]

v_minmax_i32_e64_dpp v5, v1, v2, v3 row_shr:15
// GFX11: v_minmax_i32_e64_dpp v5, v1, v2, v3 row_shr:15 row_mask:0xf bank_mask:0xf ; encoding: [0x05,0x00,0x65,0xd6,0xfa,0x04,0x0e,0x04,0x01,0x1f,0x01,0xff]

v_minmax_i32_e64_dpp v5, v1, v2, v3 row_xmask:0
// GFX11: v_minmax_i32_e64_dpp v5, v1, v2, v3 row_xmask:0 row_mask:0xf bank_mask:0xf ; encoding: [0x05,0x00,0x65,0xd6,0xfa,0x04,0x0e,0x04,0x01,0x60,0x01,0xff]

v_minmax_i32_e64_dpp v5, v1, v2, v3 row_xmask:15
// GFX11: v_minmax_i32_e64_dpp v5, v1, v2, v3 row_xmask:15 row_mask:0xf bank_mask:0xf ; encoding: [0x05,0x00,0x65,0xd6,0xfa,0x04,0x0e,0x04,0x01,0x6f,0x01,0xff]

v_minmax_i32_e64_dpp v5, v1, v2, v3 quad_perm:[3,2,1,0] fi:0
// GFX11: v_minmax_i32_e64_dpp v5, v1, v2, v3 quad_perm:[3,2,1,0] row_mask:0xf bank_mask:0xf ; encoding: [0x05,0x00,0x65,0xd6,0xfa,0x04,0x0e,0x04,0x01,0x1b,0x00,0xff]

v_minmax_i32_e64_dpp v5, v1, v2, v3 quad_perm:[3,2,1,0] fi:1
// GFX11: v_minmax_i32_e64_dpp v5, v1, v2, v3 quad_perm:[3,2,1,0] row_mask:0xf bank_mask:0xf fi:1 ; encoding: [0x05,0x00,0x65,0xd6,0xfa,0x04,0x0e,0x04,0x01,0x1b,0x04,0xff]

v_minmax_i32_e64_dpp v5, v1, v2, v3 quad_perm:[3,2,1,0] row_mask:0x0 bank_mask:0x1
// GFX11: v_minmax_i32_e64_dpp v5, v1, v2, v3 quad_perm:[3,2,1,0] row_mask:0x0 bank_mask:0x1 ; encoding: [0x05,0x00,0x65,0xd6,0xfa,0x04,0x0e,0x04,0x01,0x1b,0x00,0x01]

v_minmax_i32_e64_dpp v5, v1, v2, v3 quad_perm:[3,2,1,0] row_mask:0x3 bank_mask:0x0
// GFX11: v_minmax_i32_e64_dpp v5, v1, v2, v3 quad_perm:[3,2,1,0] row_mask:0x3 bank_mask:0x0 ; encoding: [0x05,0x00,0x65,0xd6,0xfa,0x04,0x0e,0x04,0x01,0x1b,0x00,0x30]
	;; [unrolled: 3-line block ×3, first 2 shown]

v_minmax_u32_e64_dpp v5, v1, v2, v3 quad_perm:[3,2,1,0]
// GFX11: v_minmax_u32_e64_dpp v5, v1, v2, v3 quad_perm:[3,2,1,0] row_mask:0xf bank_mask:0xf ; encoding: [0x05,0x00,0x63,0xd6,0xfa,0x04,0x0e,0x04,0x01,0x1b,0x00,0xff]

v_minmax_u32_e64_dpp v255, v255, v255, v255 quad_perm:[3,2,1,0]
// GFX11: v_minmax_u32_e64_dpp v255, v255, v255, v255 quad_perm:[3,2,1,0] row_mask:0xf bank_mask:0xf ; encoding: [0xff,0x00,0x63,0xd6,0xfa,0xfe,0xff,0x07,0xff,0x1b,0x00,0xff]

v_minmax_u32_e64_dpp v5, v1, v2, -1 quad_perm:[3,2,1,0]
// GFX11: v_minmax_u32_e64_dpp v5, v1, v2, -1 quad_perm:[3,2,1,0] row_mask:0xf bank_mask:0xf ; encoding: [0x05,0x00,0x63,0xd6,0xfa,0x04,0x06,0x03,0x01,0x1b,0x00,0xff]

v_minmax_u32_e64_dpp v5, v1, v2, 0.5 quad_perm:[3,2,1,0]
// GFX11: v_minmax_u32_e64_dpp v5, v1, v2, 0.5 quad_perm:[3,2,1,0] row_mask:0xf bank_mask:0xf ; encoding: [0x05,0x00,0x63,0xd6,0xfa,0x04,0xc2,0x03,0x01,0x1b,0x00,0xff]

v_minmax_u32_e64_dpp v5, v1, v2, exec_hi quad_perm:[3,2,1,0]
// GFX11: v_minmax_u32_e64_dpp v5, v1, v2, exec_hi quad_perm:[3,2,1,0] row_mask:0xf bank_mask:0xf ; encoding: [0x05,0x00,0x63,0xd6,0xfa,0x04,0xfe,0x01,0x01,0x1b,0x00,0xff]

v_minmax_u32_e64_dpp v5, v1, v2, exec_lo quad_perm:[3,2,1,0]
// GFX11: v_minmax_u32_e64_dpp v5, v1, v2, exec_lo quad_perm:[3,2,1,0] row_mask:0xf bank_mask:0xf ; encoding: [0x05,0x00,0x63,0xd6,0xfa,0x04,0xfa,0x01,0x01,0x1b,0x00,0xff]

v_minmax_u32_e64_dpp v5, v1, v2, m0 quad_perm:[3,2,1,0]
// GFX11: v_minmax_u32_e64_dpp v5, v1, v2, m0 quad_perm:[3,2,1,0] row_mask:0xf bank_mask:0xf ; encoding: [0x05,0x00,0x63,0xd6,0xfa,0x04,0xf6,0x01,0x01,0x1b,0x00,0xff]

v_minmax_u32_e64_dpp v5, v1, v2, null quad_perm:[3,2,1,0]
// GFX11: v_minmax_u32_e64_dpp v5, v1, v2, null quad_perm:[3,2,1,0] row_mask:0xf bank_mask:0xf ; encoding: [0x05,0x00,0x63,0xd6,0xfa,0x04,0xf2,0x01,0x01,0x1b,0x00,0xff]

v_minmax_u32_e64_dpp v5, v1, v2, s105 quad_perm:[3,2,1,0]
// GFX11: v_minmax_u32_e64_dpp v5, v1, v2, s105 quad_perm:[3,2,1,0] row_mask:0xf bank_mask:0xf ; encoding: [0x05,0x00,0x63,0xd6,0xfa,0x04,0xa6,0x01,0x01,0x1b,0x00,0xff]

v_minmax_u32_e64_dpp v5, v1, v2, s3 quad_perm:[3,2,1,0]
// GFX11: v_minmax_u32_e64_dpp v5, v1, v2, s3 quad_perm:[3,2,1,0] row_mask:0xf bank_mask:0xf ; encoding: [0x05,0x00,0x63,0xd6,0xfa,0x04,0x0e,0x00,0x01,0x1b,0x00,0xff]

v_minmax_u32_e64_dpp v5, v1, v2, src_scc quad_perm:[3,2,1,0]
// GFX11: v_minmax_u32_e64_dpp v5, v1, v2, src_scc quad_perm:[3,2,1,0] row_mask:0xf bank_mask:0xf ; encoding: [0x05,0x00,0x63,0xd6,0xfa,0x04,0xf6,0x03,0x01,0x1b,0x00,0xff]

v_minmax_u32_e64_dpp v5, v1, v2, ttmp15 quad_perm:[3,2,1,0]
// GFX11: v_minmax_u32_e64_dpp v5, v1, v2, ttmp15 quad_perm:[3,2,1,0] row_mask:0xf bank_mask:0xf ; encoding: [0x05,0x00,0x63,0xd6,0xfa,0x04,0xee,0x01,0x01,0x1b,0x00,0xff]

v_minmax_u32_e64_dpp v5, v1, v2, v255 quad_perm:[3,2,1,0]
// GFX11: v_minmax_u32_e64_dpp v5, v1, v2, v255 quad_perm:[3,2,1,0] row_mask:0xf bank_mask:0xf ; encoding: [0x05,0x00,0x63,0xd6,0xfa,0x04,0xfe,0x07,0x01,0x1b,0x00,0xff]

v_minmax_u32_e64_dpp v5, v1, v2, vcc_hi quad_perm:[3,2,1,0]
// GFX11: v_minmax_u32_e64_dpp v5, v1, v2, vcc_hi quad_perm:[3,2,1,0] row_mask:0xf bank_mask:0xf ; encoding: [0x05,0x00,0x63,0xd6,0xfa,0x04,0xae,0x01,0x01,0x1b,0x00,0xff]

v_minmax_u32_e64_dpp v5, v1, v2, vcc_lo quad_perm:[3,2,1,0]
// GFX11: v_minmax_u32_e64_dpp v5, v1, v2, vcc_lo quad_perm:[3,2,1,0] row_mask:0xf bank_mask:0xf ; encoding: [0x05,0x00,0x63,0xd6,0xfa,0x04,0xaa,0x01,0x01,0x1b,0x00,0xff]

v_minmax_u32_e64_dpp v5, v1, v2, v3 quad_perm:[3,2,1,0] bound_ctrl:0
// GFX11: v_minmax_u32_e64_dpp v5, v1, v2, v3 quad_perm:[3,2,1,0] row_mask:0xf bank_mask:0xf ; encoding: [0x05,0x00,0x63,0xd6,0xfa,0x04,0x0e,0x04,0x01,0x1b,0x00,0xff]

v_minmax_u32_e64_dpp v5, v1, v2, v3 quad_perm:[3,2,1,0] bound_ctrl:1
// GFX11: v_minmax_u32_e64_dpp v5, v1, v2, v3 quad_perm:[3,2,1,0] row_mask:0xf bank_mask:0xf bound_ctrl:1 ; encoding: [0x05,0x00,0x63,0xd6,0xfa,0x04,0x0e,0x04,0x01,0x1b,0x08,0xff]

v_minmax_u32_e64_dpp v5, v1, v2, v3 quad_perm:[0,1,2,3]
// GFX11: v_minmax_u32_e64_dpp v5, v1, v2, v3 quad_perm:[0,1,2,3] row_mask:0xf bank_mask:0xf ; encoding: [0x05,0x00,0x63,0xd6,0xfa,0x04,0x0e,0x04,0x01,0xe4,0x00,0xff]

v_minmax_u32_e64_dpp v5, v1, v2, v3 row_half_mirror
// GFX11: v_minmax_u32_e64_dpp v5, v1, v2, v3 row_half_mirror row_mask:0xf bank_mask:0xf ; encoding: [0x05,0x00,0x63,0xd6,0xfa,0x04,0x0e,0x04,0x01,0x41,0x01,0xff]

v_minmax_u32_e64_dpp v5, v1, v2, v3 row_mirror
// GFX11: v_minmax_u32_e64_dpp v5, v1, v2, v3 row_mirror row_mask:0xf bank_mask:0xf ; encoding: [0x05,0x00,0x63,0xd6,0xfa,0x04,0x0e,0x04,0x01,0x40,0x01,0xff]

v_minmax_u32_e64_dpp v5, v1, v2, v3 row_ror:1
// GFX11: v_minmax_u32_e64_dpp v5, v1, v2, v3 row_ror:1 row_mask:0xf bank_mask:0xf ; encoding: [0x05,0x00,0x63,0xd6,0xfa,0x04,0x0e,0x04,0x01,0x21,0x01,0xff]

v_minmax_u32_e64_dpp v5, v1, v2, v3 row_ror:15
// GFX11: v_minmax_u32_e64_dpp v5, v1, v2, v3 row_ror:15 row_mask:0xf bank_mask:0xf ; encoding: [0x05,0x00,0x63,0xd6,0xfa,0x04,0x0e,0x04,0x01,0x2f,0x01,0xff]

v_minmax_u32_e64_dpp v5, v1, v2, v3 row_share:0
// GFX11: v_minmax_u32_e64_dpp v5, v1, v2, v3 row_share:0 row_mask:0xf bank_mask:0xf ; encoding: [0x05,0x00,0x63,0xd6,0xfa,0x04,0x0e,0x04,0x01,0x50,0x01,0xff]

v_minmax_u32_e64_dpp v5, v1, v2, v3 row_share:15
// GFX11: v_minmax_u32_e64_dpp v5, v1, v2, v3 row_share:15 row_mask:0xf bank_mask:0xf ; encoding: [0x05,0x00,0x63,0xd6,0xfa,0x04,0x0e,0x04,0x01,0x5f,0x01,0xff]

v_minmax_u32_e64_dpp v5, v1, v2, v3 row_shl:1
// GFX11: v_minmax_u32_e64_dpp v5, v1, v2, v3 row_shl:1 row_mask:0xf bank_mask:0xf ; encoding: [0x05,0x00,0x63,0xd6,0xfa,0x04,0x0e,0x04,0x01,0x01,0x01,0xff]

v_minmax_u32_e64_dpp v5, v1, v2, v3 row_shl:15
// GFX11: v_minmax_u32_e64_dpp v5, v1, v2, v3 row_shl:15 row_mask:0xf bank_mask:0xf ; encoding: [0x05,0x00,0x63,0xd6,0xfa,0x04,0x0e,0x04,0x01,0x0f,0x01,0xff]

v_minmax_u32_e64_dpp v5, v1, v2, v3 row_shr:1
// GFX11: v_minmax_u32_e64_dpp v5, v1, v2, v3 row_shr:1 row_mask:0xf bank_mask:0xf ; encoding: [0x05,0x00,0x63,0xd6,0xfa,0x04,0x0e,0x04,0x01,0x11,0x01,0xff]

v_minmax_u32_e64_dpp v5, v1, v2, v3 row_shr:15
// GFX11: v_minmax_u32_e64_dpp v5, v1, v2, v3 row_shr:15 row_mask:0xf bank_mask:0xf ; encoding: [0x05,0x00,0x63,0xd6,0xfa,0x04,0x0e,0x04,0x01,0x1f,0x01,0xff]

v_minmax_u32_e64_dpp v5, v1, v2, v3 row_xmask:0
// GFX11: v_minmax_u32_e64_dpp v5, v1, v2, v3 row_xmask:0 row_mask:0xf bank_mask:0xf ; encoding: [0x05,0x00,0x63,0xd6,0xfa,0x04,0x0e,0x04,0x01,0x60,0x01,0xff]

v_minmax_u32_e64_dpp v5, v1, v2, v3 row_xmask:15
// GFX11: v_minmax_u32_e64_dpp v5, v1, v2, v3 row_xmask:15 row_mask:0xf bank_mask:0xf ; encoding: [0x05,0x00,0x63,0xd6,0xfa,0x04,0x0e,0x04,0x01,0x6f,0x01,0xff]

v_minmax_u32_e64_dpp v5, v1, v2, v3 quad_perm:[3,2,1,0] fi:0
// GFX11: v_minmax_u32_e64_dpp v5, v1, v2, v3 quad_perm:[3,2,1,0] row_mask:0xf bank_mask:0xf ; encoding: [0x05,0x00,0x63,0xd6,0xfa,0x04,0x0e,0x04,0x01,0x1b,0x00,0xff]

v_minmax_u32_e64_dpp v5, v1, v2, v3 quad_perm:[3,2,1,0] fi:1
// GFX11: v_minmax_u32_e64_dpp v5, v1, v2, v3 quad_perm:[3,2,1,0] row_mask:0xf bank_mask:0xf fi:1 ; encoding: [0x05,0x00,0x63,0xd6,0xfa,0x04,0x0e,0x04,0x01,0x1b,0x04,0xff]

v_minmax_u32_e64_dpp v5, v1, v2, v3 quad_perm:[3,2,1,0] row_mask:0x0 bank_mask:0x1
// GFX11: v_minmax_u32_e64_dpp v5, v1, v2, v3 quad_perm:[3,2,1,0] row_mask:0x0 bank_mask:0x1 ; encoding: [0x05,0x00,0x63,0xd6,0xfa,0x04,0x0e,0x04,0x01,0x1b,0x00,0x01]

v_minmax_u32_e64_dpp v5, v1, v2, v3 quad_perm:[3,2,1,0] row_mask:0x3 bank_mask:0x0
// GFX11: v_minmax_u32_e64_dpp v5, v1, v2, v3 quad_perm:[3,2,1,0] row_mask:0x3 bank_mask:0x0 ; encoding: [0x05,0x00,0x63,0xd6,0xfa,0x04,0x0e,0x04,0x01,0x1b,0x00,0x30]
	;; [unrolled: 3-line block ×3, first 2 shown]

v_msad_u8_e64_dpp v5, v1, v2, v3 quad_perm:[3,2,1,0]
// GFX11: v_msad_u8_e64_dpp v5, v1, v2, v3 quad_perm:[3,2,1,0] row_mask:0xf bank_mask:0xf ; encoding: [0x05,0x00,0x39,0xd6,0xfa,0x04,0x0e,0x04,0x01,0x1b,0x00,0xff]

v_msad_u8_e64_dpp v255, v255, v255, v255 quad_perm:[3,2,1,0]
// GFX11: v_msad_u8_e64_dpp v255, v255, v255, v255 quad_perm:[3,2,1,0] row_mask:0xf bank_mask:0xf ; encoding: [0xff,0x00,0x39,0xd6,0xfa,0xfe,0xff,0x07,0xff,0x1b,0x00,0xff]

v_msad_u8_e64_dpp v5, v1, v2, -1 quad_perm:[3,2,1,0]
// GFX11: v_msad_u8_e64_dpp v5, v1, v2, -1 quad_perm:[3,2,1,0] row_mask:0xf bank_mask:0xf ; encoding: [0x05,0x00,0x39,0xd6,0xfa,0x04,0x06,0x03,0x01,0x1b,0x00,0xff]

v_msad_u8_e64_dpp v5, v1, v2, 0.5 quad_perm:[3,2,1,0]
// GFX11: v_msad_u8_e64_dpp v5, v1, v2, 0.5 quad_perm:[3,2,1,0] row_mask:0xf bank_mask:0xf ; encoding: [0x05,0x00,0x39,0xd6,0xfa,0x04,0xc2,0x03,0x01,0x1b,0x00,0xff]

v_msad_u8_e64_dpp v5, v1, v2, exec_hi quad_perm:[3,2,1,0]
// GFX11: v_msad_u8_e64_dpp v5, v1, v2, exec_hi quad_perm:[3,2,1,0] row_mask:0xf bank_mask:0xf ; encoding: [0x05,0x00,0x39,0xd6,0xfa,0x04,0xfe,0x01,0x01,0x1b,0x00,0xff]

v_msad_u8_e64_dpp v5, v1, v2, exec_lo quad_perm:[3,2,1,0]
// GFX11: v_msad_u8_e64_dpp v5, v1, v2, exec_lo quad_perm:[3,2,1,0] row_mask:0xf bank_mask:0xf ; encoding: [0x05,0x00,0x39,0xd6,0xfa,0x04,0xfa,0x01,0x01,0x1b,0x00,0xff]

v_msad_u8_e64_dpp v5, v1, v2, m0 quad_perm:[3,2,1,0]
// GFX11: v_msad_u8_e64_dpp v5, v1, v2, m0 quad_perm:[3,2,1,0] row_mask:0xf bank_mask:0xf ; encoding: [0x05,0x00,0x39,0xd6,0xfa,0x04,0xf6,0x01,0x01,0x1b,0x00,0xff]

v_msad_u8_e64_dpp v5, v1, v2, null quad_perm:[3,2,1,0]
// GFX11: v_msad_u8_e64_dpp v5, v1, v2, null quad_perm:[3,2,1,0] row_mask:0xf bank_mask:0xf ; encoding: [0x05,0x00,0x39,0xd6,0xfa,0x04,0xf2,0x01,0x01,0x1b,0x00,0xff]

v_msad_u8_e64_dpp v5, v1, v2, s105 quad_perm:[3,2,1,0]
// GFX11: v_msad_u8_e64_dpp v5, v1, v2, s105 quad_perm:[3,2,1,0] row_mask:0xf bank_mask:0xf ; encoding: [0x05,0x00,0x39,0xd6,0xfa,0x04,0xa6,0x01,0x01,0x1b,0x00,0xff]

v_msad_u8_e64_dpp v5, v1, v2, s3 quad_perm:[3,2,1,0]
// GFX11: v_msad_u8_e64_dpp v5, v1, v2, s3 quad_perm:[3,2,1,0] row_mask:0xf bank_mask:0xf ; encoding: [0x05,0x00,0x39,0xd6,0xfa,0x04,0x0e,0x00,0x01,0x1b,0x00,0xff]

v_msad_u8_e64_dpp v5, v1, v2, src_scc quad_perm:[3,2,1,0]
// GFX11: v_msad_u8_e64_dpp v5, v1, v2, src_scc quad_perm:[3,2,1,0] row_mask:0xf bank_mask:0xf ; encoding: [0x05,0x00,0x39,0xd6,0xfa,0x04,0xf6,0x03,0x01,0x1b,0x00,0xff]

v_msad_u8_e64_dpp v5, v1, v2, ttmp15 quad_perm:[3,2,1,0]
// GFX11: v_msad_u8_e64_dpp v5, v1, v2, ttmp15 quad_perm:[3,2,1,0] row_mask:0xf bank_mask:0xf ; encoding: [0x05,0x00,0x39,0xd6,0xfa,0x04,0xee,0x01,0x01,0x1b,0x00,0xff]

v_msad_u8_e64_dpp v5, v1, v2, v255 quad_perm:[3,2,1,0]
// GFX11: v_msad_u8_e64_dpp v5, v1, v2, v255 quad_perm:[3,2,1,0] row_mask:0xf bank_mask:0xf ; encoding: [0x05,0x00,0x39,0xd6,0xfa,0x04,0xfe,0x07,0x01,0x1b,0x00,0xff]

v_msad_u8_e64_dpp v5, v1, v2, vcc_hi quad_perm:[3,2,1,0]
// GFX11: v_msad_u8_e64_dpp v5, v1, v2, vcc_hi quad_perm:[3,2,1,0] row_mask:0xf bank_mask:0xf ; encoding: [0x05,0x00,0x39,0xd6,0xfa,0x04,0xae,0x01,0x01,0x1b,0x00,0xff]

v_msad_u8_e64_dpp v5, v1, v2, vcc_lo quad_perm:[3,2,1,0]
// GFX11: v_msad_u8_e64_dpp v5, v1, v2, vcc_lo quad_perm:[3,2,1,0] row_mask:0xf bank_mask:0xf ; encoding: [0x05,0x00,0x39,0xd6,0xfa,0x04,0xaa,0x01,0x01,0x1b,0x00,0xff]

v_msad_u8_e64_dpp v5, v1, v2, v3 quad_perm:[3,2,1,0] bound_ctrl:0
// GFX11: v_msad_u8_e64_dpp v5, v1, v2, v3 quad_perm:[3,2,1,0] row_mask:0xf bank_mask:0xf ; encoding: [0x05,0x00,0x39,0xd6,0xfa,0x04,0x0e,0x04,0x01,0x1b,0x00,0xff]

v_msad_u8_e64_dpp v5, v1, v2, v3 quad_perm:[3,2,1,0] bound_ctrl:1
// GFX11: v_msad_u8_e64_dpp v5, v1, v2, v3 quad_perm:[3,2,1,0] row_mask:0xf bank_mask:0xf bound_ctrl:1 ; encoding: [0x05,0x00,0x39,0xd6,0xfa,0x04,0x0e,0x04,0x01,0x1b,0x08,0xff]

v_msad_u8_e64_dpp v5, v1, v2, v3 quad_perm:[0,1,2,3]
// GFX11: v_msad_u8_e64_dpp v5, v1, v2, v3 quad_perm:[0,1,2,3] row_mask:0xf bank_mask:0xf ; encoding: [0x05,0x00,0x39,0xd6,0xfa,0x04,0x0e,0x04,0x01,0xe4,0x00,0xff]

v_msad_u8_e64_dpp v5, v1, v2, v3 row_half_mirror
// GFX11: v_msad_u8_e64_dpp v5, v1, v2, v3 row_half_mirror row_mask:0xf bank_mask:0xf ; encoding: [0x05,0x00,0x39,0xd6,0xfa,0x04,0x0e,0x04,0x01,0x41,0x01,0xff]

v_msad_u8_e64_dpp v5, v1, v2, v3 row_mirror
// GFX11: v_msad_u8_e64_dpp v5, v1, v2, v3 row_mirror row_mask:0xf bank_mask:0xf ; encoding: [0x05,0x00,0x39,0xd6,0xfa,0x04,0x0e,0x04,0x01,0x40,0x01,0xff]

v_msad_u8_e64_dpp v5, v1, v2, v3 row_ror:1
// GFX11: v_msad_u8_e64_dpp v5, v1, v2, v3 row_ror:1 row_mask:0xf bank_mask:0xf ; encoding: [0x05,0x00,0x39,0xd6,0xfa,0x04,0x0e,0x04,0x01,0x21,0x01,0xff]

v_msad_u8_e64_dpp v5, v1, v2, v3 row_ror:15
// GFX11: v_msad_u8_e64_dpp v5, v1, v2, v3 row_ror:15 row_mask:0xf bank_mask:0xf ; encoding: [0x05,0x00,0x39,0xd6,0xfa,0x04,0x0e,0x04,0x01,0x2f,0x01,0xff]

v_msad_u8_e64_dpp v5, v1, v2, v3 row_share:0
// GFX11: v_msad_u8_e64_dpp v5, v1, v2, v3 row_share:0 row_mask:0xf bank_mask:0xf ; encoding: [0x05,0x00,0x39,0xd6,0xfa,0x04,0x0e,0x04,0x01,0x50,0x01,0xff]

v_msad_u8_e64_dpp v5, v1, v2, v3 row_share:15
// GFX11: v_msad_u8_e64_dpp v5, v1, v2, v3 row_share:15 row_mask:0xf bank_mask:0xf ; encoding: [0x05,0x00,0x39,0xd6,0xfa,0x04,0x0e,0x04,0x01,0x5f,0x01,0xff]

v_msad_u8_e64_dpp v5, v1, v2, v3 row_shl:1
// GFX11: v_msad_u8_e64_dpp v5, v1, v2, v3 row_shl:1 row_mask:0xf bank_mask:0xf ; encoding: [0x05,0x00,0x39,0xd6,0xfa,0x04,0x0e,0x04,0x01,0x01,0x01,0xff]

v_msad_u8_e64_dpp v5, v1, v2, v3 row_shl:15
// GFX11: v_msad_u8_e64_dpp v5, v1, v2, v3 row_shl:15 row_mask:0xf bank_mask:0xf ; encoding: [0x05,0x00,0x39,0xd6,0xfa,0x04,0x0e,0x04,0x01,0x0f,0x01,0xff]

v_msad_u8_e64_dpp v5, v1, v2, v3 row_shr:1
// GFX11: v_msad_u8_e64_dpp v5, v1, v2, v3 row_shr:1 row_mask:0xf bank_mask:0xf ; encoding: [0x05,0x00,0x39,0xd6,0xfa,0x04,0x0e,0x04,0x01,0x11,0x01,0xff]

v_msad_u8_e64_dpp v5, v1, v2, v3 row_shr:15
// GFX11: v_msad_u8_e64_dpp v5, v1, v2, v3 row_shr:15 row_mask:0xf bank_mask:0xf ; encoding: [0x05,0x00,0x39,0xd6,0xfa,0x04,0x0e,0x04,0x01,0x1f,0x01,0xff]

v_msad_u8_e64_dpp v5, v1, v2, v3 row_xmask:0
// GFX11: v_msad_u8_e64_dpp v5, v1, v2, v3 row_xmask:0 row_mask:0xf bank_mask:0xf ; encoding: [0x05,0x00,0x39,0xd6,0xfa,0x04,0x0e,0x04,0x01,0x60,0x01,0xff]

v_msad_u8_e64_dpp v5, v1, v2, v3 row_xmask:15
// GFX11: v_msad_u8_e64_dpp v5, v1, v2, v3 row_xmask:15 row_mask:0xf bank_mask:0xf ; encoding: [0x05,0x00,0x39,0xd6,0xfa,0x04,0x0e,0x04,0x01,0x6f,0x01,0xff]

v_msad_u8_e64_dpp v5, v1, v2, v3 quad_perm:[3,2,1,0] fi:0
// GFX11: v_msad_u8_e64_dpp v5, v1, v2, v3 quad_perm:[3,2,1,0] row_mask:0xf bank_mask:0xf ; encoding: [0x05,0x00,0x39,0xd6,0xfa,0x04,0x0e,0x04,0x01,0x1b,0x00,0xff]

v_msad_u8_e64_dpp v5, v1, v2, v3 quad_perm:[3,2,1,0] fi:1
// GFX11: v_msad_u8_e64_dpp v5, v1, v2, v3 quad_perm:[3,2,1,0] row_mask:0xf bank_mask:0xf fi:1 ; encoding: [0x05,0x00,0x39,0xd6,0xfa,0x04,0x0e,0x04,0x01,0x1b,0x04,0xff]

v_msad_u8_e64_dpp v5, v1, v2, v3 quad_perm:[3,2,1,0] row_mask:0x0 bank_mask:0x1
// GFX11: v_msad_u8_e64_dpp v5, v1, v2, v3 quad_perm:[3,2,1,0] row_mask:0x0 bank_mask:0x1 ; encoding: [0x05,0x00,0x39,0xd6,0xfa,0x04,0x0e,0x04,0x01,0x1b,0x00,0x01]

v_msad_u8_e64_dpp v5, v1, v2, v3 quad_perm:[3,2,1,0] row_mask:0x3 bank_mask:0x0
// GFX11: v_msad_u8_e64_dpp v5, v1, v2, v3 quad_perm:[3,2,1,0] row_mask:0x3 bank_mask:0x0 ; encoding: [0x05,0x00,0x39,0xd6,0xfa,0x04,0x0e,0x04,0x01,0x1b,0x00,0x30]
	;; [unrolled: 3-line block ×3, first 2 shown]

v_msad_u8_e64_dpp v5, v1, v2, v3 clamp quad_perm:[3,2,1,0]
// GFX11: v_msad_u8_e64_dpp v5, v1, v2, v3 clamp quad_perm:[3,2,1,0] row_mask:0xf bank_mask:0xf ; encoding: [0x05,0x80,0x39,0xd6,0xfa,0x04,0x0e,0x04,0x01,0x1b,0x00,0xff]

v_mul_lo_u16_e64_dpp v5.l, v1.l, v2.l quad_perm:[3,2,1,0]
// GFX11: v_mul_lo_u16_e64_dpp v5.l, v1.l, v2.l quad_perm:[3,2,1,0] row_mask:0xf bank_mask:0xf ; encoding: [0x05,0x00,0x05,0xd7,0xfa,0x04,0x02,0x00,0x01,0x1b,0x00,0xff]

v_mul_lo_u16_e64_dpp v255.l, v255.l, v255.l quad_perm:[3,2,1,0]
// GFX11: v_mul_lo_u16_e64_dpp v255.l, v255.l, v255.l quad_perm:[3,2,1,0] row_mask:0xf bank_mask:0xf ; encoding: [0xff,0x00,0x05,0xd7,0xfa,0xfe,0x03,0x00,0xff,0x1b,0x00,0xff]

v_mul_lo_u16_e64_dpp v5.l, v1.h, v2.l op_sel:[1,0,0] quad_perm:[3,2,1,0]
// GFX11: v_mul_lo_u16_e64_dpp v5.l, v1.h, v2.l op_sel:[1,0,0] quad_perm:[3,2,1,0] row_mask:0xf bank_mask:0xf ; encoding: [0x05,0x08,0x05,0xd7,0xfa,0x04,0x02,0x00,0x01,0x1b,0x00,0xff]

v_mul_lo_u16_e64_dpp v5.l, v1.l, v2.h op_sel:[0,1,0] quad_perm:[3,2,1,0]
// GFX11: v_mul_lo_u16_e64_dpp v5.l, v1.l, v2.h op_sel:[0,1,0] quad_perm:[3,2,1,0] row_mask:0xf bank_mask:0xf ; encoding: [0x05,0x10,0x05,0xd7,0xfa,0x04,0x02,0x00,0x01,0x1b,0x00,0xff]

v_mul_lo_u16_e64_dpp v5.l, v1.l, v2.l quad_perm:[3,2,1,0] bound_ctrl:0
// GFX11: v_mul_lo_u16_e64_dpp v5.l, v1.l, v2.l quad_perm:[3,2,1,0] row_mask:0xf bank_mask:0xf ; encoding: [0x05,0x00,0x05,0xd7,0xfa,0x04,0x02,0x00,0x01,0x1b,0x00,0xff]

v_mul_lo_u16_e64_dpp v5.l, v1.l, v2.l quad_perm:[3,2,1,0] bound_ctrl:1
// GFX11: v_mul_lo_u16_e64_dpp v5.l, v1.l, v2.l quad_perm:[3,2,1,0] row_mask:0xf bank_mask:0xf bound_ctrl:1 ; encoding: [0x05,0x00,0x05,0xd7,0xfa,0x04,0x02,0x00,0x01,0x1b,0x08,0xff]

v_mul_lo_u16_e64_dpp v5.l, v1.l, v2.l quad_perm:[0,1,2,3]
// GFX11: v_mul_lo_u16_e64_dpp v5.l, v1.l, v2.l quad_perm:[0,1,2,3] row_mask:0xf bank_mask:0xf ; encoding: [0x05,0x00,0x05,0xd7,0xfa,0x04,0x02,0x00,0x01,0xe4,0x00,0xff]

v_mul_lo_u16_e64_dpp v5.l, v1.l, v2.l row_half_mirror
// GFX11: v_mul_lo_u16_e64_dpp v5.l, v1.l, v2.l row_half_mirror row_mask:0xf bank_mask:0xf ; encoding: [0x05,0x00,0x05,0xd7,0xfa,0x04,0x02,0x00,0x01,0x41,0x01,0xff]

v_mul_lo_u16_e64_dpp v5.l, v1.l, v2.l row_mirror
// GFX11: v_mul_lo_u16_e64_dpp v5.l, v1.l, v2.l row_mirror row_mask:0xf bank_mask:0xf ; encoding: [0x05,0x00,0x05,0xd7,0xfa,0x04,0x02,0x00,0x01,0x40,0x01,0xff]

v_mul_lo_u16_e64_dpp v5.l, v1.l, v2.l row_ror:1
// GFX11: v_mul_lo_u16_e64_dpp v5.l, v1.l, v2.l row_ror:1 row_mask:0xf bank_mask:0xf ; encoding: [0x05,0x00,0x05,0xd7,0xfa,0x04,0x02,0x00,0x01,0x21,0x01,0xff]

v_mul_lo_u16_e64_dpp v5.l, v1.l, v2.l row_ror:15
// GFX11: v_mul_lo_u16_e64_dpp v5.l, v1.l, v2.l row_ror:15 row_mask:0xf bank_mask:0xf ; encoding: [0x05,0x00,0x05,0xd7,0xfa,0x04,0x02,0x00,0x01,0x2f,0x01,0xff]

v_mul_lo_u16_e64_dpp v5.l, v1.l, v2.l row_share:0
// GFX11: v_mul_lo_u16_e64_dpp v5.l, v1.l, v2.l row_share:0 row_mask:0xf bank_mask:0xf ; encoding: [0x05,0x00,0x05,0xd7,0xfa,0x04,0x02,0x00,0x01,0x50,0x01,0xff]

v_mul_lo_u16_e64_dpp v5.l, v1.l, v2.l row_share:15
// GFX11: v_mul_lo_u16_e64_dpp v5.l, v1.l, v2.l row_share:15 row_mask:0xf bank_mask:0xf ; encoding: [0x05,0x00,0x05,0xd7,0xfa,0x04,0x02,0x00,0x01,0x5f,0x01,0xff]

v_mul_lo_u16_e64_dpp v5.l, v1.l, v2.l row_shl:1
// GFX11: v_mul_lo_u16_e64_dpp v5.l, v1.l, v2.l row_shl:1 row_mask:0xf bank_mask:0xf ; encoding: [0x05,0x00,0x05,0xd7,0xfa,0x04,0x02,0x00,0x01,0x01,0x01,0xff]

v_mul_lo_u16_e64_dpp v5.l, v1.l, v2.l row_shl:15
// GFX11: v_mul_lo_u16_e64_dpp v5.l, v1.l, v2.l row_shl:15 row_mask:0xf bank_mask:0xf ; encoding: [0x05,0x00,0x05,0xd7,0xfa,0x04,0x02,0x00,0x01,0x0f,0x01,0xff]

v_mul_lo_u16_e64_dpp v5.l, v1.l, v2.l row_shr:1
// GFX11: v_mul_lo_u16_e64_dpp v5.l, v1.l, v2.l row_shr:1 row_mask:0xf bank_mask:0xf ; encoding: [0x05,0x00,0x05,0xd7,0xfa,0x04,0x02,0x00,0x01,0x11,0x01,0xff]

v_mul_lo_u16_e64_dpp v5.l, v1.l, v2.l row_shr:15
// GFX11: v_mul_lo_u16_e64_dpp v5.l, v1.l, v2.l row_shr:15 row_mask:0xf bank_mask:0xf ; encoding: [0x05,0x00,0x05,0xd7,0xfa,0x04,0x02,0x00,0x01,0x1f,0x01,0xff]

v_mul_lo_u16_e64_dpp v5.l, v1.l, v2.l row_xmask:0
// GFX11: v_mul_lo_u16_e64_dpp v5.l, v1.l, v2.l row_xmask:0 row_mask:0xf bank_mask:0xf ; encoding: [0x05,0x00,0x05,0xd7,0xfa,0x04,0x02,0x00,0x01,0x60,0x01,0xff]

v_mul_lo_u16_e64_dpp v5.l, v1.l, v2.l row_xmask:15
// GFX11: v_mul_lo_u16_e64_dpp v5.l, v1.l, v2.l row_xmask:15 row_mask:0xf bank_mask:0xf ; encoding: [0x05,0x00,0x05,0xd7,0xfa,0x04,0x02,0x00,0x01,0x6f,0x01,0xff]

v_mul_lo_u16_e64_dpp v5.l, v1.l, v2.l quad_perm:[3,2,1,0] fi:0
// GFX11: v_mul_lo_u16_e64_dpp v5.l, v1.l, v2.l quad_perm:[3,2,1,0] row_mask:0xf bank_mask:0xf ; encoding: [0x05,0x00,0x05,0xd7,0xfa,0x04,0x02,0x00,0x01,0x1b,0x00,0xff]

v_mul_lo_u16_e64_dpp v5.l, v1.l, v2.l quad_perm:[3,2,1,0] fi:1
// GFX11: v_mul_lo_u16_e64_dpp v5.l, v1.l, v2.l quad_perm:[3,2,1,0] row_mask:0xf bank_mask:0xf fi:1 ; encoding: [0x05,0x00,0x05,0xd7,0xfa,0x04,0x02,0x00,0x01,0x1b,0x04,0xff]

v_mul_lo_u16_e64_dpp v5.l, v1.l, v2.l quad_perm:[3,2,1,0] row_mask:0x0 bank_mask:0x1
// GFX11: v_mul_lo_u16_e64_dpp v5.l, v1.l, v2.l quad_perm:[3,2,1,0] row_mask:0x0 bank_mask:0x1 ; encoding: [0x05,0x00,0x05,0xd7,0xfa,0x04,0x02,0x00,0x01,0x1b,0x00,0x01]

v_mul_lo_u16_e64_dpp v5.l, v1.l, v2.l quad_perm:[3,2,1,0] row_mask:0x3 bank_mask:0x0
// GFX11: v_mul_lo_u16_e64_dpp v5.l, v1.l, v2.l quad_perm:[3,2,1,0] row_mask:0x3 bank_mask:0x0 ; encoding: [0x05,0x00,0x05,0xd7,0xfa,0x04,0x02,0x00,0x01,0x1b,0x00,0x30]
	;; [unrolled: 3-line block ×3, first 2 shown]

v_mullit_f32_e64_dpp v5, v1, v2, v3 quad_perm:[3,2,1,0]
// GFX11: v_mullit_f32_e64_dpp v5, v1, v2, v3 quad_perm:[3,2,1,0] row_mask:0xf bank_mask:0xf ; encoding: [0x05,0x00,0x18,0xd6,0xfa,0x04,0x0e,0x04,0x01,0x1b,0x00,0xff]

v_mullit_f32_e64_dpp v255, v255, v255, v255 quad_perm:[3,2,1,0]
// GFX11: v_mullit_f32_e64_dpp v255, v255, v255, v255 quad_perm:[3,2,1,0] row_mask:0xf bank_mask:0xf ; encoding: [0xff,0x00,0x18,0xd6,0xfa,0xfe,0xff,0x07,0xff,0x1b,0x00,0xff]

v_mullit_f32_e64_dpp v5, -v7, v2, v3 quad_perm:[3,2,1,0]
// GFX11: v_mullit_f32_e64_dpp v5, -v7, v2, v3 quad_perm:[3,2,1,0] row_mask:0xf bank_mask:0xf ; encoding: [0x05,0x00,0x18,0xd6,0xfa,0x04,0x0e,0x24,0x07,0x1b,0x00,0xff]

v_mullit_f32_e64_dpp v5, |v7|, v2, v3 quad_perm:[3,2,1,0]
// GFX11: v_mullit_f32_e64_dpp v5, |v7|, v2, v3 quad_perm:[3,2,1,0] row_mask:0xf bank_mask:0xf ; encoding: [0x05,0x01,0x18,0xd6,0xfa,0x04,0x0e,0x04,0x07,0x1b,0x00,0xff]

v_mullit_f32_e64_dpp v5, -|v7|, v2, v3 quad_perm:[3,2,1,0]
// GFX11: v_mullit_f32_e64_dpp v5, -|v7|, v2, v3 quad_perm:[3,2,1,0] row_mask:0xf bank_mask:0xf ; encoding: [0x05,0x01,0x18,0xd6,0xfa,0x04,0x0e,0x24,0x07,0x1b,0x00,0xff]

v_mullit_f32_e64_dpp v5, v1, -v7, v3 quad_perm:[3,2,1,0]
// GFX11: v_mullit_f32_e64_dpp v5, v1, -v7, v3 quad_perm:[3,2,1,0] row_mask:0xf bank_mask:0xf ; encoding: [0x05,0x00,0x18,0xd6,0xfa,0x0e,0x0e,0x44,0x01,0x1b,0x00,0xff]

v_mullit_f32_e64_dpp v5, v1, |v7|, v3 quad_perm:[3,2,1,0]
// GFX11: v_mullit_f32_e64_dpp v5, v1, |v7|, v3 quad_perm:[3,2,1,0] row_mask:0xf bank_mask:0xf ; encoding: [0x05,0x02,0x18,0xd6,0xfa,0x0e,0x0e,0x04,0x01,0x1b,0x00,0xff]

v_mullit_f32_e64_dpp v5, v1, -|v7|, v3 quad_perm:[3,2,1,0]
// GFX11: v_mullit_f32_e64_dpp v5, v1, -|v7|, v3 quad_perm:[3,2,1,0] row_mask:0xf bank_mask:0xf ; encoding: [0x05,0x02,0x18,0xd6,0xfa,0x0e,0x0e,0x44,0x01,0x1b,0x00,0xff]

v_mullit_f32_e64_dpp v5, v1, v2, -1 quad_perm:[3,2,1,0]
// GFX11: v_mullit_f32_e64_dpp v5, v1, v2, -1 quad_perm:[3,2,1,0] row_mask:0xf bank_mask:0xf ; encoding: [0x05,0x00,0x18,0xd6,0xfa,0x04,0x06,0x03,0x01,0x1b,0x00,0xff]

v_mullit_f32_e64_dpp v5, v1, v2, 0.5 quad_perm:[3,2,1,0]
// GFX11: v_mullit_f32_e64_dpp v5, v1, v2, 0.5 quad_perm:[3,2,1,0] row_mask:0xf bank_mask:0xf ; encoding: [0x05,0x00,0x18,0xd6,0xfa,0x04,0xc2,0x03,0x01,0x1b,0x00,0xff]

v_mullit_f32_e64_dpp v5, v1, v2, exec_hi quad_perm:[3,2,1,0]
// GFX11: v_mullit_f32_e64_dpp v5, v1, v2, exec_hi quad_perm:[3,2,1,0] row_mask:0xf bank_mask:0xf ; encoding: [0x05,0x00,0x18,0xd6,0xfa,0x04,0xfe,0x01,0x01,0x1b,0x00,0xff]

v_mullit_f32_e64_dpp v5, v1, v2, exec_lo quad_perm:[3,2,1,0]
// GFX11: v_mullit_f32_e64_dpp v5, v1, v2, exec_lo quad_perm:[3,2,1,0] row_mask:0xf bank_mask:0xf ; encoding: [0x05,0x00,0x18,0xd6,0xfa,0x04,0xfa,0x01,0x01,0x1b,0x00,0xff]

v_mullit_f32_e64_dpp v5, v1, v2, m0 quad_perm:[3,2,1,0]
// GFX11: v_mullit_f32_e64_dpp v5, v1, v2, m0 quad_perm:[3,2,1,0] row_mask:0xf bank_mask:0xf ; encoding: [0x05,0x00,0x18,0xd6,0xfa,0x04,0xf6,0x01,0x01,0x1b,0x00,0xff]

v_mullit_f32_e64_dpp v5, v1, v2, null quad_perm:[3,2,1,0]
// GFX11: v_mullit_f32_e64_dpp v5, v1, v2, null quad_perm:[3,2,1,0] row_mask:0xf bank_mask:0xf ; encoding: [0x05,0x00,0x18,0xd6,0xfa,0x04,0xf2,0x01,0x01,0x1b,0x00,0xff]

v_mullit_f32_e64_dpp v5, v1, v2, s105 quad_perm:[3,2,1,0]
// GFX11: v_mullit_f32_e64_dpp v5, v1, v2, s105 quad_perm:[3,2,1,0] row_mask:0xf bank_mask:0xf ; encoding: [0x05,0x00,0x18,0xd6,0xfa,0x04,0xa6,0x01,0x01,0x1b,0x00,0xff]

v_mullit_f32_e64_dpp v5, v1, v2, s3 quad_perm:[3,2,1,0]
// GFX11: v_mullit_f32_e64_dpp v5, v1, v2, s3 quad_perm:[3,2,1,0] row_mask:0xf bank_mask:0xf ; encoding: [0x05,0x00,0x18,0xd6,0xfa,0x04,0x0e,0x00,0x01,0x1b,0x00,0xff]

v_mullit_f32_e64_dpp v5, v1, v2, src_scc quad_perm:[3,2,1,0]
// GFX11: v_mullit_f32_e64_dpp v5, v1, v2, src_scc quad_perm:[3,2,1,0] row_mask:0xf bank_mask:0xf ; encoding: [0x05,0x00,0x18,0xd6,0xfa,0x04,0xf6,0x03,0x01,0x1b,0x00,0xff]

v_mullit_f32_e64_dpp v5, v1, v2, ttmp15 quad_perm:[3,2,1,0]
// GFX11: v_mullit_f32_e64_dpp v5, v1, v2, ttmp15 quad_perm:[3,2,1,0] row_mask:0xf bank_mask:0xf ; encoding: [0x05,0x00,0x18,0xd6,0xfa,0x04,0xee,0x01,0x01,0x1b,0x00,0xff]

v_mullit_f32_e64_dpp v5, v1, v2, v255 quad_perm:[3,2,1,0]
// GFX11: v_mullit_f32_e64_dpp v5, v1, v2, v255 quad_perm:[3,2,1,0] row_mask:0xf bank_mask:0xf ; encoding: [0x05,0x00,0x18,0xd6,0xfa,0x04,0xfe,0x07,0x01,0x1b,0x00,0xff]

v_mullit_f32_e64_dpp v5, v1, v2, vcc_hi quad_perm:[3,2,1,0]
// GFX11: v_mullit_f32_e64_dpp v5, v1, v2, vcc_hi quad_perm:[3,2,1,0] row_mask:0xf bank_mask:0xf ; encoding: [0x05,0x00,0x18,0xd6,0xfa,0x04,0xae,0x01,0x01,0x1b,0x00,0xff]

v_mullit_f32_e64_dpp v5, v1, v2, vcc_lo quad_perm:[3,2,1,0]
// GFX11: v_mullit_f32_e64_dpp v5, v1, v2, vcc_lo quad_perm:[3,2,1,0] row_mask:0xf bank_mask:0xf ; encoding: [0x05,0x00,0x18,0xd6,0xfa,0x04,0xaa,0x01,0x01,0x1b,0x00,0xff]

v_mullit_f32_e64_dpp v5, v1, v2, -|0.5| quad_perm:[3,2,1,0]
// GFX11: v_mullit_f32_e64_dpp v5, v1, v2, -|0.5| quad_perm:[3,2,1,0] row_mask:0xf bank_mask:0xf ; encoding: [0x05,0x04,0x18,0xd6,0xfa,0x04,0xc2,0x83,0x01,0x1b,0x00,0xff]

v_mullit_f32_e64_dpp v5, v1, v2, v3 quad_perm:[3,2,1,0] bound_ctrl:0
// GFX11: v_mullit_f32_e64_dpp v5, v1, v2, v3 quad_perm:[3,2,1,0] row_mask:0xf bank_mask:0xf ; encoding: [0x05,0x00,0x18,0xd6,0xfa,0x04,0x0e,0x04,0x01,0x1b,0x00,0xff]

v_mullit_f32_e64_dpp v5, v1, v2, v3 quad_perm:[3,2,1,0] bound_ctrl:1
// GFX11: v_mullit_f32_e64_dpp v5, v1, v2, v3 quad_perm:[3,2,1,0] row_mask:0xf bank_mask:0xf bound_ctrl:1 ; encoding: [0x05,0x00,0x18,0xd6,0xfa,0x04,0x0e,0x04,0x01,0x1b,0x08,0xff]

v_mullit_f32_e64_dpp v5, v1, v2, v3 quad_perm:[0,1,2,3]
// GFX11: v_mullit_f32_e64_dpp v5, v1, v2, v3 quad_perm:[0,1,2,3] row_mask:0xf bank_mask:0xf ; encoding: [0x05,0x00,0x18,0xd6,0xfa,0x04,0x0e,0x04,0x01,0xe4,0x00,0xff]

v_mullit_f32_e64_dpp v5, v1, v2, v3 row_half_mirror
// GFX11: v_mullit_f32_e64_dpp v5, v1, v2, v3 row_half_mirror row_mask:0xf bank_mask:0xf ; encoding: [0x05,0x00,0x18,0xd6,0xfa,0x04,0x0e,0x04,0x01,0x41,0x01,0xff]

v_mullit_f32_e64_dpp v5, v1, v2, v3 row_mirror
// GFX11: v_mullit_f32_e64_dpp v5, v1, v2, v3 row_mirror row_mask:0xf bank_mask:0xf ; encoding: [0x05,0x00,0x18,0xd6,0xfa,0x04,0x0e,0x04,0x01,0x40,0x01,0xff]

v_mullit_f32_e64_dpp v5, v1, v2, v3 row_ror:1
// GFX11: v_mullit_f32_e64_dpp v5, v1, v2, v3 row_ror:1 row_mask:0xf bank_mask:0xf ; encoding: [0x05,0x00,0x18,0xd6,0xfa,0x04,0x0e,0x04,0x01,0x21,0x01,0xff]

v_mullit_f32_e64_dpp v5, v1, v2, v3 row_ror:15
// GFX11: v_mullit_f32_e64_dpp v5, v1, v2, v3 row_ror:15 row_mask:0xf bank_mask:0xf ; encoding: [0x05,0x00,0x18,0xd6,0xfa,0x04,0x0e,0x04,0x01,0x2f,0x01,0xff]

v_mullit_f32_e64_dpp v5, v1, v2, v3 row_share:0
// GFX11: v_mullit_f32_e64_dpp v5, v1, v2, v3 row_share:0 row_mask:0xf bank_mask:0xf ; encoding: [0x05,0x00,0x18,0xd6,0xfa,0x04,0x0e,0x04,0x01,0x50,0x01,0xff]

v_mullit_f32_e64_dpp v5, v1, v2, v3 row_share:15
// GFX11: v_mullit_f32_e64_dpp v5, v1, v2, v3 row_share:15 row_mask:0xf bank_mask:0xf ; encoding: [0x05,0x00,0x18,0xd6,0xfa,0x04,0x0e,0x04,0x01,0x5f,0x01,0xff]

v_mullit_f32_e64_dpp v5, v1, v2, v3 row_shl:1
// GFX11: v_mullit_f32_e64_dpp v5, v1, v2, v3 row_shl:1 row_mask:0xf bank_mask:0xf ; encoding: [0x05,0x00,0x18,0xd6,0xfa,0x04,0x0e,0x04,0x01,0x01,0x01,0xff]

v_mullit_f32_e64_dpp v5, v1, v2, v3 row_shl:15
// GFX11: v_mullit_f32_e64_dpp v5, v1, v2, v3 row_shl:15 row_mask:0xf bank_mask:0xf ; encoding: [0x05,0x00,0x18,0xd6,0xfa,0x04,0x0e,0x04,0x01,0x0f,0x01,0xff]

v_mullit_f32_e64_dpp v5, v1, v2, v3 row_shr:1
// GFX11: v_mullit_f32_e64_dpp v5, v1, v2, v3 row_shr:1 row_mask:0xf bank_mask:0xf ; encoding: [0x05,0x00,0x18,0xd6,0xfa,0x04,0x0e,0x04,0x01,0x11,0x01,0xff]

v_mullit_f32_e64_dpp v5, v1, v2, v3 row_shr:15
// GFX11: v_mullit_f32_e64_dpp v5, v1, v2, v3 row_shr:15 row_mask:0xf bank_mask:0xf ; encoding: [0x05,0x00,0x18,0xd6,0xfa,0x04,0x0e,0x04,0x01,0x1f,0x01,0xff]

v_mullit_f32_e64_dpp v5, v1, v2, v3 row_xmask:0
// GFX11: v_mullit_f32_e64_dpp v5, v1, v2, v3 row_xmask:0 row_mask:0xf bank_mask:0xf ; encoding: [0x05,0x00,0x18,0xd6,0xfa,0x04,0x0e,0x04,0x01,0x60,0x01,0xff]

v_mullit_f32_e64_dpp v5, v1, v2, v3 row_xmask:15
// GFX11: v_mullit_f32_e64_dpp v5, v1, v2, v3 row_xmask:15 row_mask:0xf bank_mask:0xf ; encoding: [0x05,0x00,0x18,0xd6,0xfa,0x04,0x0e,0x04,0x01,0x6f,0x01,0xff]

v_mullit_f32_e64_dpp v5, v1, v2, v3 quad_perm:[3,2,1,0] fi:0
// GFX11: v_mullit_f32_e64_dpp v5, v1, v2, v3 quad_perm:[3,2,1,0] row_mask:0xf bank_mask:0xf ; encoding: [0x05,0x00,0x18,0xd6,0xfa,0x04,0x0e,0x04,0x01,0x1b,0x00,0xff]

v_mullit_f32_e64_dpp v5, v1, v2, v3 quad_perm:[3,2,1,0] fi:1
// GFX11: v_mullit_f32_e64_dpp v5, v1, v2, v3 quad_perm:[3,2,1,0] row_mask:0xf bank_mask:0xf fi:1 ; encoding: [0x05,0x00,0x18,0xd6,0xfa,0x04,0x0e,0x04,0x01,0x1b,0x04,0xff]

v_mullit_f32_e64_dpp v5, v1, v2, v3 div:2 quad_perm:[3,2,1,0]
// GFX11: v_mullit_f32_e64_dpp v5, v1, v2, v3 div:2 quad_perm:[3,2,1,0] row_mask:0xf bank_mask:0xf ; encoding: [0x05,0x00,0x18,0xd6,0xfa,0x04,0x0e,0x1c,0x01,0x1b,0x00,0xff]

v_mullit_f32_e64_dpp v5, v1, v2, v3 mul:2 quad_perm:[3,2,1,0]
// GFX11: v_mullit_f32_e64_dpp v5, v1, v2, v3 mul:2 quad_perm:[3,2,1,0] row_mask:0xf bank_mask:0xf ; encoding: [0x05,0x00,0x18,0xd6,0xfa,0x04,0x0e,0x0c,0x01,0x1b,0x00,0xff]

v_mullit_f32_e64_dpp v5, v1, v2, v3 mul:4 quad_perm:[3,2,1,0]
// GFX11: v_mullit_f32_e64_dpp v5, v1, v2, v3 mul:4 quad_perm:[3,2,1,0] row_mask:0xf bank_mask:0xf ; encoding: [0x05,0x00,0x18,0xd6,0xfa,0x04,0x0e,0x14,0x01,0x1b,0x00,0xff]

v_mullit_f32_e64_dpp v5, v1, v2, v3 quad_perm:[3,2,1,0] row_mask:0x0 bank_mask:0x1
// GFX11: v_mullit_f32_e64_dpp v5, v1, v2, v3 quad_perm:[3,2,1,0] row_mask:0x0 bank_mask:0x1 ; encoding: [0x05,0x00,0x18,0xd6,0xfa,0x04,0x0e,0x04,0x01,0x1b,0x00,0x01]

v_mullit_f32_e64_dpp v5, v1, v2, v3 quad_perm:[3,2,1,0] row_mask:0x3 bank_mask:0x0
// GFX11: v_mullit_f32_e64_dpp v5, v1, v2, v3 quad_perm:[3,2,1,0] row_mask:0x3 bank_mask:0x0 ; encoding: [0x05,0x00,0x18,0xd6,0xfa,0x04,0x0e,0x04,0x01,0x1b,0x00,0x30]
	;; [unrolled: 3-line block ×3, first 2 shown]

v_mullit_f32_e64_dpp v5, v1, v2, v3 clamp quad_perm:[3,2,1,0]
// GFX11: v_mullit_f32_e64_dpp v5, v1, v2, v3 clamp quad_perm:[3,2,1,0] row_mask:0xf bank_mask:0xf ; encoding: [0x05,0x80,0x18,0xd6,0xfa,0x04,0x0e,0x04,0x01,0x1b,0x00,0xff]

v_or3_b32_e64_dpp v5, v1, v2, v3 quad_perm:[3,2,1,0]
// GFX11: v_or3_b32_e64_dpp v5, v1, v2, v3 quad_perm:[3,2,1,0] row_mask:0xf bank_mask:0xf ; encoding: [0x05,0x00,0x58,0xd6,0xfa,0x04,0x0e,0x04,0x01,0x1b,0x00,0xff]

v_or3_b32_e64_dpp v255, v255, v255, v255 quad_perm:[3,2,1,0]
// GFX11: v_or3_b32_e64_dpp v255, v255, v255, v255 quad_perm:[3,2,1,0] row_mask:0xf bank_mask:0xf ; encoding: [0xff,0x00,0x58,0xd6,0xfa,0xfe,0xff,0x07,0xff,0x1b,0x00,0xff]

v_or3_b32_e64_dpp v5, v1, v2, -1 quad_perm:[3,2,1,0]
// GFX11: v_or3_b32_e64_dpp v5, v1, v2, -1 quad_perm:[3,2,1,0] row_mask:0xf bank_mask:0xf ; encoding: [0x05,0x00,0x58,0xd6,0xfa,0x04,0x06,0x03,0x01,0x1b,0x00,0xff]

v_or3_b32_e64_dpp v5, v1, v2, 0.5 quad_perm:[3,2,1,0]
// GFX11: v_or3_b32_e64_dpp v5, v1, v2, 0.5 quad_perm:[3,2,1,0] row_mask:0xf bank_mask:0xf ; encoding: [0x05,0x00,0x58,0xd6,0xfa,0x04,0xc2,0x03,0x01,0x1b,0x00,0xff]

v_or3_b32_e64_dpp v5, v1, v2, exec_hi quad_perm:[3,2,1,0]
// GFX11: v_or3_b32_e64_dpp v5, v1, v2, exec_hi quad_perm:[3,2,1,0] row_mask:0xf bank_mask:0xf ; encoding: [0x05,0x00,0x58,0xd6,0xfa,0x04,0xfe,0x01,0x01,0x1b,0x00,0xff]

v_or3_b32_e64_dpp v5, v1, v2, exec_lo quad_perm:[3,2,1,0]
// GFX11: v_or3_b32_e64_dpp v5, v1, v2, exec_lo quad_perm:[3,2,1,0] row_mask:0xf bank_mask:0xf ; encoding: [0x05,0x00,0x58,0xd6,0xfa,0x04,0xfa,0x01,0x01,0x1b,0x00,0xff]

v_or3_b32_e64_dpp v5, v1, v2, m0 quad_perm:[3,2,1,0]
// GFX11: v_or3_b32_e64_dpp v5, v1, v2, m0 quad_perm:[3,2,1,0] row_mask:0xf bank_mask:0xf ; encoding: [0x05,0x00,0x58,0xd6,0xfa,0x04,0xf6,0x01,0x01,0x1b,0x00,0xff]

v_or3_b32_e64_dpp v5, v1, v2, null quad_perm:[3,2,1,0]
// GFX11: v_or3_b32_e64_dpp v5, v1, v2, null quad_perm:[3,2,1,0] row_mask:0xf bank_mask:0xf ; encoding: [0x05,0x00,0x58,0xd6,0xfa,0x04,0xf2,0x01,0x01,0x1b,0x00,0xff]

v_or3_b32_e64_dpp v5, v1, v2, s105 quad_perm:[3,2,1,0]
// GFX11: v_or3_b32_e64_dpp v5, v1, v2, s105 quad_perm:[3,2,1,0] row_mask:0xf bank_mask:0xf ; encoding: [0x05,0x00,0x58,0xd6,0xfa,0x04,0xa6,0x01,0x01,0x1b,0x00,0xff]

v_or3_b32_e64_dpp v5, v1, v2, s3 quad_perm:[3,2,1,0]
// GFX11: v_or3_b32_e64_dpp v5, v1, v2, s3 quad_perm:[3,2,1,0] row_mask:0xf bank_mask:0xf ; encoding: [0x05,0x00,0x58,0xd6,0xfa,0x04,0x0e,0x00,0x01,0x1b,0x00,0xff]

v_or3_b32_e64_dpp v5, v1, v2, src_scc quad_perm:[3,2,1,0]
// GFX11: v_or3_b32_e64_dpp v5, v1, v2, src_scc quad_perm:[3,2,1,0] row_mask:0xf bank_mask:0xf ; encoding: [0x05,0x00,0x58,0xd6,0xfa,0x04,0xf6,0x03,0x01,0x1b,0x00,0xff]

v_or3_b32_e64_dpp v5, v1, v2, ttmp15 quad_perm:[3,2,1,0]
// GFX11: v_or3_b32_e64_dpp v5, v1, v2, ttmp15 quad_perm:[3,2,1,0] row_mask:0xf bank_mask:0xf ; encoding: [0x05,0x00,0x58,0xd6,0xfa,0x04,0xee,0x01,0x01,0x1b,0x00,0xff]

v_or3_b32_e64_dpp v5, v1, v2, v255 quad_perm:[3,2,1,0]
// GFX11: v_or3_b32_e64_dpp v5, v1, v2, v255 quad_perm:[3,2,1,0] row_mask:0xf bank_mask:0xf ; encoding: [0x05,0x00,0x58,0xd6,0xfa,0x04,0xfe,0x07,0x01,0x1b,0x00,0xff]

v_or3_b32_e64_dpp v5, v1, v2, vcc_hi quad_perm:[3,2,1,0]
// GFX11: v_or3_b32_e64_dpp v5, v1, v2, vcc_hi quad_perm:[3,2,1,0] row_mask:0xf bank_mask:0xf ; encoding: [0x05,0x00,0x58,0xd6,0xfa,0x04,0xae,0x01,0x01,0x1b,0x00,0xff]

v_or3_b32_e64_dpp v5, v1, v2, vcc_lo quad_perm:[3,2,1,0]
// GFX11: v_or3_b32_e64_dpp v5, v1, v2, vcc_lo quad_perm:[3,2,1,0] row_mask:0xf bank_mask:0xf ; encoding: [0x05,0x00,0x58,0xd6,0xfa,0x04,0xaa,0x01,0x01,0x1b,0x00,0xff]

v_or3_b32_e64_dpp v5, v1, v2, v3 quad_perm:[3,2,1,0] bound_ctrl:0
// GFX11: v_or3_b32_e64_dpp v5, v1, v2, v3 quad_perm:[3,2,1,0] row_mask:0xf bank_mask:0xf ; encoding: [0x05,0x00,0x58,0xd6,0xfa,0x04,0x0e,0x04,0x01,0x1b,0x00,0xff]

v_or3_b32_e64_dpp v5, v1, v2, v3 quad_perm:[3,2,1,0] bound_ctrl:1
// GFX11: v_or3_b32_e64_dpp v5, v1, v2, v3 quad_perm:[3,2,1,0] row_mask:0xf bank_mask:0xf bound_ctrl:1 ; encoding: [0x05,0x00,0x58,0xd6,0xfa,0x04,0x0e,0x04,0x01,0x1b,0x08,0xff]

v_or3_b32_e64_dpp v5, v1, v2, v3 quad_perm:[0,1,2,3]
// GFX11: v_or3_b32_e64_dpp v5, v1, v2, v3 quad_perm:[0,1,2,3] row_mask:0xf bank_mask:0xf ; encoding: [0x05,0x00,0x58,0xd6,0xfa,0x04,0x0e,0x04,0x01,0xe4,0x00,0xff]

v_or3_b32_e64_dpp v5, v1, v2, v3 row_half_mirror
// GFX11: v_or3_b32_e64_dpp v5, v1, v2, v3 row_half_mirror row_mask:0xf bank_mask:0xf ; encoding: [0x05,0x00,0x58,0xd6,0xfa,0x04,0x0e,0x04,0x01,0x41,0x01,0xff]

v_or3_b32_e64_dpp v5, v1, v2, v3 row_mirror
// GFX11: v_or3_b32_e64_dpp v5, v1, v2, v3 row_mirror row_mask:0xf bank_mask:0xf ; encoding: [0x05,0x00,0x58,0xd6,0xfa,0x04,0x0e,0x04,0x01,0x40,0x01,0xff]

v_or3_b32_e64_dpp v5, v1, v2, v3 row_ror:1
// GFX11: v_or3_b32_e64_dpp v5, v1, v2, v3 row_ror:1 row_mask:0xf bank_mask:0xf ; encoding: [0x05,0x00,0x58,0xd6,0xfa,0x04,0x0e,0x04,0x01,0x21,0x01,0xff]

v_or3_b32_e64_dpp v5, v1, v2, v3 row_ror:15
// GFX11: v_or3_b32_e64_dpp v5, v1, v2, v3 row_ror:15 row_mask:0xf bank_mask:0xf ; encoding: [0x05,0x00,0x58,0xd6,0xfa,0x04,0x0e,0x04,0x01,0x2f,0x01,0xff]

v_or3_b32_e64_dpp v5, v1, v2, v3 row_share:0
// GFX11: v_or3_b32_e64_dpp v5, v1, v2, v3 row_share:0 row_mask:0xf bank_mask:0xf ; encoding: [0x05,0x00,0x58,0xd6,0xfa,0x04,0x0e,0x04,0x01,0x50,0x01,0xff]

v_or3_b32_e64_dpp v5, v1, v2, v3 row_share:15
// GFX11: v_or3_b32_e64_dpp v5, v1, v2, v3 row_share:15 row_mask:0xf bank_mask:0xf ; encoding: [0x05,0x00,0x58,0xd6,0xfa,0x04,0x0e,0x04,0x01,0x5f,0x01,0xff]

v_or3_b32_e64_dpp v5, v1, v2, v3 row_shl:1
// GFX11: v_or3_b32_e64_dpp v5, v1, v2, v3 row_shl:1 row_mask:0xf bank_mask:0xf ; encoding: [0x05,0x00,0x58,0xd6,0xfa,0x04,0x0e,0x04,0x01,0x01,0x01,0xff]

v_or3_b32_e64_dpp v5, v1, v2, v3 row_shl:15
// GFX11: v_or3_b32_e64_dpp v5, v1, v2, v3 row_shl:15 row_mask:0xf bank_mask:0xf ; encoding: [0x05,0x00,0x58,0xd6,0xfa,0x04,0x0e,0x04,0x01,0x0f,0x01,0xff]

v_or3_b32_e64_dpp v5, v1, v2, v3 row_shr:1
// GFX11: v_or3_b32_e64_dpp v5, v1, v2, v3 row_shr:1 row_mask:0xf bank_mask:0xf ; encoding: [0x05,0x00,0x58,0xd6,0xfa,0x04,0x0e,0x04,0x01,0x11,0x01,0xff]

v_or3_b32_e64_dpp v5, v1, v2, v3 row_shr:15
// GFX11: v_or3_b32_e64_dpp v5, v1, v2, v3 row_shr:15 row_mask:0xf bank_mask:0xf ; encoding: [0x05,0x00,0x58,0xd6,0xfa,0x04,0x0e,0x04,0x01,0x1f,0x01,0xff]

v_or3_b32_e64_dpp v5, v1, v2, v3 row_xmask:0
// GFX11: v_or3_b32_e64_dpp v5, v1, v2, v3 row_xmask:0 row_mask:0xf bank_mask:0xf ; encoding: [0x05,0x00,0x58,0xd6,0xfa,0x04,0x0e,0x04,0x01,0x60,0x01,0xff]

v_or3_b32_e64_dpp v5, v1, v2, v3 row_xmask:15
// GFX11: v_or3_b32_e64_dpp v5, v1, v2, v3 row_xmask:15 row_mask:0xf bank_mask:0xf ; encoding: [0x05,0x00,0x58,0xd6,0xfa,0x04,0x0e,0x04,0x01,0x6f,0x01,0xff]

v_or3_b32_e64_dpp v5, v1, v2, v3 quad_perm:[3,2,1,0] fi:0
// GFX11: v_or3_b32_e64_dpp v5, v1, v2, v3 quad_perm:[3,2,1,0] row_mask:0xf bank_mask:0xf ; encoding: [0x05,0x00,0x58,0xd6,0xfa,0x04,0x0e,0x04,0x01,0x1b,0x00,0xff]

v_or3_b32_e64_dpp v5, v1, v2, v3 quad_perm:[3,2,1,0] fi:1
// GFX11: v_or3_b32_e64_dpp v5, v1, v2, v3 quad_perm:[3,2,1,0] row_mask:0xf bank_mask:0xf fi:1 ; encoding: [0x05,0x00,0x58,0xd6,0xfa,0x04,0x0e,0x04,0x01,0x1b,0x04,0xff]

v_or3_b32_e64_dpp v5, v1, v2, v3 quad_perm:[3,2,1,0] row_mask:0x0 bank_mask:0x1
// GFX11: v_or3_b32_e64_dpp v5, v1, v2, v3 quad_perm:[3,2,1,0] row_mask:0x0 bank_mask:0x1 ; encoding: [0x05,0x00,0x58,0xd6,0xfa,0x04,0x0e,0x04,0x01,0x1b,0x00,0x01]

v_or3_b32_e64_dpp v5, v1, v2, v3 quad_perm:[3,2,1,0] row_mask:0x3 bank_mask:0x0
// GFX11: v_or3_b32_e64_dpp v5, v1, v2, v3 quad_perm:[3,2,1,0] row_mask:0x3 bank_mask:0x0 ; encoding: [0x05,0x00,0x58,0xd6,0xfa,0x04,0x0e,0x04,0x01,0x1b,0x00,0x30]

v_or3_b32_e64_dpp v5, v1, v2, v3 quad_perm:[3,2,1,0] row_mask:0xf bank_mask:0xf
// GFX11: v_or3_b32_e64_dpp v5, v1, v2, v3 quad_perm:[3,2,1,0] row_mask:0xf bank_mask:0xf ; encoding: [0x05,0x00,0x58,0xd6,0xfa,0x04,0x0e,0x04,0x01,0x1b,0x00,0xff]

v_or_b16_e64_dpp v5.l, v1.l, v2.l quad_perm:[3,2,1,0]
// GFX11: v_or_b16_e64_dpp v5.l, v1.l, v2.l quad_perm:[3,2,1,0] row_mask:0xf bank_mask:0xf ; encoding: [0x05,0x00,0x63,0xd7,0xfa,0x04,0x02,0x00,0x01,0x1b,0x00,0xff]

v_or_b16_e64_dpp v255.l, v255.l, v255.l quad_perm:[3,2,1,0]
// GFX11: v_or_b16_e64_dpp v255.l, v255.l, v255.l quad_perm:[3,2,1,0] row_mask:0xf bank_mask:0xf ; encoding: [0xff,0x00,0x63,0xd7,0xfa,0xfe,0x03,0x00,0xff,0x1b,0x00,0xff]

v_or_b16_e64_dpp v5.l, v1.h, v2.l op_sel:[1,0,0] quad_perm:[3,2,1,0]
// GFX11: v_or_b16_e64_dpp v5.l, v1.h, v2.l op_sel:[1,0,0] quad_perm:[3,2,1,0] row_mask:0xf bank_mask:0xf ; encoding: [0x05,0x08,0x63,0xd7,0xfa,0x04,0x02,0x00,0x01,0x1b,0x00,0xff]

v_or_b16_e64_dpp v5.l, v1.l, v2.h op_sel:[0,1,0] quad_perm:[3,2,1,0]
// GFX11: v_or_b16_e64_dpp v5.l, v1.l, v2.h op_sel:[0,1,0] quad_perm:[3,2,1,0] row_mask:0xf bank_mask:0xf ; encoding: [0x05,0x10,0x63,0xd7,0xfa,0x04,0x02,0x00,0x01,0x1b,0x00,0xff]

v_or_b16_e64_dpp v5.l, v1.l, v2.l quad_perm:[3,2,1,0] bound_ctrl:0
// GFX11: v_or_b16_e64_dpp v5.l, v1.l, v2.l quad_perm:[3,2,1,0] row_mask:0xf bank_mask:0xf ; encoding: [0x05,0x00,0x63,0xd7,0xfa,0x04,0x02,0x00,0x01,0x1b,0x00,0xff]

v_or_b16_e64_dpp v5.l, v1.l, v2.l quad_perm:[3,2,1,0] bound_ctrl:1
// GFX11: v_or_b16_e64_dpp v5.l, v1.l, v2.l quad_perm:[3,2,1,0] row_mask:0xf bank_mask:0xf bound_ctrl:1 ; encoding: [0x05,0x00,0x63,0xd7,0xfa,0x04,0x02,0x00,0x01,0x1b,0x08,0xff]

v_or_b16_e64_dpp v5.l, v1.l, v2.l quad_perm:[0,1,2,3]
// GFX11: v_or_b16_e64_dpp v5.l, v1.l, v2.l quad_perm:[0,1,2,3] row_mask:0xf bank_mask:0xf ; encoding: [0x05,0x00,0x63,0xd7,0xfa,0x04,0x02,0x00,0x01,0xe4,0x00,0xff]

v_or_b16_e64_dpp v5.l, v1.l, v2.l row_half_mirror
// GFX11: v_or_b16_e64_dpp v5.l, v1.l, v2.l row_half_mirror row_mask:0xf bank_mask:0xf ; encoding: [0x05,0x00,0x63,0xd7,0xfa,0x04,0x02,0x00,0x01,0x41,0x01,0xff]

v_or_b16_e64_dpp v5.l, v1.l, v2.l row_mirror
// GFX11: v_or_b16_e64_dpp v5.l, v1.l, v2.l row_mirror row_mask:0xf bank_mask:0xf ; encoding: [0x05,0x00,0x63,0xd7,0xfa,0x04,0x02,0x00,0x01,0x40,0x01,0xff]

v_or_b16_e64_dpp v5.l, v1.l, v2.l row_ror:1
// GFX11: v_or_b16_e64_dpp v5.l, v1.l, v2.l row_ror:1 row_mask:0xf bank_mask:0xf ; encoding: [0x05,0x00,0x63,0xd7,0xfa,0x04,0x02,0x00,0x01,0x21,0x01,0xff]

v_or_b16_e64_dpp v5.l, v1.l, v2.l row_ror:15
// GFX11: v_or_b16_e64_dpp v5.l, v1.l, v2.l row_ror:15 row_mask:0xf bank_mask:0xf ; encoding: [0x05,0x00,0x63,0xd7,0xfa,0x04,0x02,0x00,0x01,0x2f,0x01,0xff]

v_or_b16_e64_dpp v5.l, v1.l, v2.l row_share:0
// GFX11: v_or_b16_e64_dpp v5.l, v1.l, v2.l row_share:0 row_mask:0xf bank_mask:0xf ; encoding: [0x05,0x00,0x63,0xd7,0xfa,0x04,0x02,0x00,0x01,0x50,0x01,0xff]

v_or_b16_e64_dpp v5.l, v1.l, v2.l row_share:15
// GFX11: v_or_b16_e64_dpp v5.l, v1.l, v2.l row_share:15 row_mask:0xf bank_mask:0xf ; encoding: [0x05,0x00,0x63,0xd7,0xfa,0x04,0x02,0x00,0x01,0x5f,0x01,0xff]

v_or_b16_e64_dpp v5.l, v1.l, v2.l row_shl:1
// GFX11: v_or_b16_e64_dpp v5.l, v1.l, v2.l row_shl:1 row_mask:0xf bank_mask:0xf ; encoding: [0x05,0x00,0x63,0xd7,0xfa,0x04,0x02,0x00,0x01,0x01,0x01,0xff]

v_or_b16_e64_dpp v5.l, v1.l, v2.l row_shl:15
// GFX11: v_or_b16_e64_dpp v5.l, v1.l, v2.l row_shl:15 row_mask:0xf bank_mask:0xf ; encoding: [0x05,0x00,0x63,0xd7,0xfa,0x04,0x02,0x00,0x01,0x0f,0x01,0xff]

v_or_b16_e64_dpp v5.l, v1.l, v2.l row_shr:1
// GFX11: v_or_b16_e64_dpp v5.l, v1.l, v2.l row_shr:1 row_mask:0xf bank_mask:0xf ; encoding: [0x05,0x00,0x63,0xd7,0xfa,0x04,0x02,0x00,0x01,0x11,0x01,0xff]

v_or_b16_e64_dpp v5.l, v1.l, v2.l row_shr:15
// GFX11: v_or_b16_e64_dpp v5.l, v1.l, v2.l row_shr:15 row_mask:0xf bank_mask:0xf ; encoding: [0x05,0x00,0x63,0xd7,0xfa,0x04,0x02,0x00,0x01,0x1f,0x01,0xff]

v_or_b16_e64_dpp v5.l, v1.l, v2.l row_xmask:0
// GFX11: v_or_b16_e64_dpp v5.l, v1.l, v2.l row_xmask:0 row_mask:0xf bank_mask:0xf ; encoding: [0x05,0x00,0x63,0xd7,0xfa,0x04,0x02,0x00,0x01,0x60,0x01,0xff]

v_or_b16_e64_dpp v5.l, v1.l, v2.l row_xmask:15
// GFX11: v_or_b16_e64_dpp v5.l, v1.l, v2.l row_xmask:15 row_mask:0xf bank_mask:0xf ; encoding: [0x05,0x00,0x63,0xd7,0xfa,0x04,0x02,0x00,0x01,0x6f,0x01,0xff]

v_or_b16_e64_dpp v5.l, v1.l, v2.l quad_perm:[3,2,1,0] fi:0
// GFX11: v_or_b16_e64_dpp v5.l, v1.l, v2.l quad_perm:[3,2,1,0] row_mask:0xf bank_mask:0xf ; encoding: [0x05,0x00,0x63,0xd7,0xfa,0x04,0x02,0x00,0x01,0x1b,0x00,0xff]

v_or_b16_e64_dpp v5.l, v1.l, v2.l quad_perm:[3,2,1,0] fi:1
// GFX11: v_or_b16_e64_dpp v5.l, v1.l, v2.l quad_perm:[3,2,1,0] row_mask:0xf bank_mask:0xf fi:1 ; encoding: [0x05,0x00,0x63,0xd7,0xfa,0x04,0x02,0x00,0x01,0x1b,0x04,0xff]

v_or_b16_e64_dpp v5.l, v1.l, v2.l quad_perm:[3,2,1,0] row_mask:0x0 bank_mask:0x1
// GFX11: v_or_b16_e64_dpp v5.l, v1.l, v2.l quad_perm:[3,2,1,0] row_mask:0x0 bank_mask:0x1 ; encoding: [0x05,0x00,0x63,0xd7,0xfa,0x04,0x02,0x00,0x01,0x1b,0x00,0x01]

v_or_b16_e64_dpp v5.l, v1.l, v2.l quad_perm:[3,2,1,0] row_mask:0x3 bank_mask:0x0
// GFX11: v_or_b16_e64_dpp v5.l, v1.l, v2.l quad_perm:[3,2,1,0] row_mask:0x3 bank_mask:0x0 ; encoding: [0x05,0x00,0x63,0xd7,0xfa,0x04,0x02,0x00,0x01,0x1b,0x00,0x30]
	;; [unrolled: 3-line block ×3, first 2 shown]

v_pack_b32_f16_e64_dpp v5, v1.l, v2.l quad_perm:[3,2,1,0]
// GFX11: v_pack_b32_f16_e64_dpp v5, v1.l, v2.l quad_perm:[3,2,1,0] row_mask:0xf bank_mask:0xf ; encoding: [0x05,0x00,0x11,0xd7,0xfa,0x04,0x02,0x00,0x01,0x1b,0x00,0xff]

v_pack_b32_f16_e64_dpp v255, v255.l, v255.l quad_perm:[3,2,1,0]
// GFX11: v_pack_b32_f16_e64_dpp v255, v255.l, v255.l quad_perm:[3,2,1,0] row_mask:0xf bank_mask:0xf ; encoding: [0xff,0x00,0x11,0xd7,0xfa,0xfe,0x03,0x00,0xff,0x1b,0x00,0xff]

v_pack_b32_f16_e64_dpp v5, -v7.l, v2.l quad_perm:[3,2,1,0]
// GFX11: v_pack_b32_f16_e64_dpp v5, -v7.l, v2.l quad_perm:[3,2,1,0] row_mask:0xf bank_mask:0xf ; encoding: [0x05,0x00,0x11,0xd7,0xfa,0x04,0x02,0x20,0x07,0x1b,0x00,0xff]

v_pack_b32_f16_e64_dpp v5, |v7.l|, v2.l quad_perm:[3,2,1,0]
// GFX11: v_pack_b32_f16_e64_dpp v5, |v7.l|, v2.l quad_perm:[3,2,1,0] row_mask:0xf bank_mask:0xf ; encoding: [0x05,0x01,0x11,0xd7,0xfa,0x04,0x02,0x00,0x07,0x1b,0x00,0xff]

v_pack_b32_f16_e64_dpp v5, -|v7.l|, v2.l quad_perm:[3,2,1,0]
// GFX11: v_pack_b32_f16_e64_dpp v5, -|v7.l|, v2.l quad_perm:[3,2,1,0] row_mask:0xf bank_mask:0xf ; encoding: [0x05,0x01,0x11,0xd7,0xfa,0x04,0x02,0x20,0x07,0x1b,0x00,0xff]

v_pack_b32_f16_e64_dpp v5, v1.l, -v7.l quad_perm:[3,2,1,0]
// GFX11: v_pack_b32_f16_e64_dpp v5, v1.l, -v7.l quad_perm:[3,2,1,0] row_mask:0xf bank_mask:0xf ; encoding: [0x05,0x00,0x11,0xd7,0xfa,0x0e,0x02,0x40,0x01,0x1b,0x00,0xff]

v_pack_b32_f16_e64_dpp v5, v1.l, |v7.l| quad_perm:[3,2,1,0]
// GFX11: v_pack_b32_f16_e64_dpp v5, v1.l, |v7.l| quad_perm:[3,2,1,0] row_mask:0xf bank_mask:0xf ; encoding: [0x05,0x02,0x11,0xd7,0xfa,0x0e,0x02,0x00,0x01,0x1b,0x00,0xff]

v_pack_b32_f16_e64_dpp v5, v1.l, -|v7.l| quad_perm:[3,2,1,0]
// GFX11: v_pack_b32_f16_e64_dpp v5, v1.l, -|v7.l| quad_perm:[3,2,1,0] row_mask:0xf bank_mask:0xf ; encoding: [0x05,0x02,0x11,0xd7,0xfa,0x0e,0x02,0x40,0x01,0x1b,0x00,0xff]

v_pack_b32_f16_e64_dpp v5, v1.h, v2.l op_sel:[1,0,0] quad_perm:[3,2,1,0]
// GFX11: v_pack_b32_f16_e64_dpp v5, v1.h, v2.l op_sel:[1,0,0] quad_perm:[3,2,1,0] row_mask:0xf bank_mask:0xf ; encoding: [0x05,0x08,0x11,0xd7,0xfa,0x04,0x02,0x00,0x01,0x1b,0x00,0xff]

v_pack_b32_f16_e64_dpp v5, v1.l, v2.h op_sel:[0,1,0] quad_perm:[3,2,1,0]
// GFX11: v_pack_b32_f16_e64_dpp v5, v1.l, v2.h op_sel:[0,1,0] quad_perm:[3,2,1,0] row_mask:0xf bank_mask:0xf ; encoding: [0x05,0x10,0x11,0xd7,0xfa,0x04,0x02,0x00,0x01,0x1b,0x00,0xff]

v_pack_b32_f16_e64_dpp v5, v1.l, v2.l quad_perm:[3,2,1,0] bound_ctrl:0
// GFX11: v_pack_b32_f16_e64_dpp v5, v1.l, v2.l quad_perm:[3,2,1,0] row_mask:0xf bank_mask:0xf ; encoding: [0x05,0x00,0x11,0xd7,0xfa,0x04,0x02,0x00,0x01,0x1b,0x00,0xff]

v_pack_b32_f16_e64_dpp v5, v1.l, v2.l quad_perm:[3,2,1,0] bound_ctrl:1
// GFX11: v_pack_b32_f16_e64_dpp v5, v1.l, v2.l quad_perm:[3,2,1,0] row_mask:0xf bank_mask:0xf bound_ctrl:1 ; encoding: [0x05,0x00,0x11,0xd7,0xfa,0x04,0x02,0x00,0x01,0x1b,0x08,0xff]

v_pack_b32_f16_e64_dpp v5, v1.l, v2.l quad_perm:[0,1,2,3]
// GFX11: v_pack_b32_f16_e64_dpp v5, v1.l, v2.l quad_perm:[0,1,2,3] row_mask:0xf bank_mask:0xf ; encoding: [0x05,0x00,0x11,0xd7,0xfa,0x04,0x02,0x00,0x01,0xe4,0x00,0xff]

v_pack_b32_f16_e64_dpp v5, v1.l, v2.l row_half_mirror
// GFX11: v_pack_b32_f16_e64_dpp v5, v1.l, v2.l row_half_mirror row_mask:0xf bank_mask:0xf ; encoding: [0x05,0x00,0x11,0xd7,0xfa,0x04,0x02,0x00,0x01,0x41,0x01,0xff]

v_pack_b32_f16_e64_dpp v5, v1.l, v2.l row_mirror
// GFX11: v_pack_b32_f16_e64_dpp v5, v1.l, v2.l row_mirror row_mask:0xf bank_mask:0xf ; encoding: [0x05,0x00,0x11,0xd7,0xfa,0x04,0x02,0x00,0x01,0x40,0x01,0xff]

v_pack_b32_f16_e64_dpp v5, v1.l, v2.l row_ror:1
// GFX11: v_pack_b32_f16_e64_dpp v5, v1.l, v2.l row_ror:1 row_mask:0xf bank_mask:0xf ; encoding: [0x05,0x00,0x11,0xd7,0xfa,0x04,0x02,0x00,0x01,0x21,0x01,0xff]

v_pack_b32_f16_e64_dpp v5, v1.l, v2.l row_ror:15
// GFX11: v_pack_b32_f16_e64_dpp v5, v1.l, v2.l row_ror:15 row_mask:0xf bank_mask:0xf ; encoding: [0x05,0x00,0x11,0xd7,0xfa,0x04,0x02,0x00,0x01,0x2f,0x01,0xff]

v_pack_b32_f16_e64_dpp v5, v1.l, v2.l row_share:0
// GFX11: v_pack_b32_f16_e64_dpp v5, v1.l, v2.l row_share:0 row_mask:0xf bank_mask:0xf ; encoding: [0x05,0x00,0x11,0xd7,0xfa,0x04,0x02,0x00,0x01,0x50,0x01,0xff]

v_pack_b32_f16_e64_dpp v5, v1.l, v2.l row_share:15
// GFX11: v_pack_b32_f16_e64_dpp v5, v1.l, v2.l row_share:15 row_mask:0xf bank_mask:0xf ; encoding: [0x05,0x00,0x11,0xd7,0xfa,0x04,0x02,0x00,0x01,0x5f,0x01,0xff]

v_pack_b32_f16_e64_dpp v5, v1.l, v2.l row_shl:1
// GFX11: v_pack_b32_f16_e64_dpp v5, v1.l, v2.l row_shl:1 row_mask:0xf bank_mask:0xf ; encoding: [0x05,0x00,0x11,0xd7,0xfa,0x04,0x02,0x00,0x01,0x01,0x01,0xff]

v_pack_b32_f16_e64_dpp v5, v1.l, v2.l row_shl:15
// GFX11: v_pack_b32_f16_e64_dpp v5, v1.l, v2.l row_shl:15 row_mask:0xf bank_mask:0xf ; encoding: [0x05,0x00,0x11,0xd7,0xfa,0x04,0x02,0x00,0x01,0x0f,0x01,0xff]

v_pack_b32_f16_e64_dpp v5, v1.l, v2.l row_shr:1
// GFX11: v_pack_b32_f16_e64_dpp v5, v1.l, v2.l row_shr:1 row_mask:0xf bank_mask:0xf ; encoding: [0x05,0x00,0x11,0xd7,0xfa,0x04,0x02,0x00,0x01,0x11,0x01,0xff]

v_pack_b32_f16_e64_dpp v5, v1.l, v2.l row_shr:15
// GFX11: v_pack_b32_f16_e64_dpp v5, v1.l, v2.l row_shr:15 row_mask:0xf bank_mask:0xf ; encoding: [0x05,0x00,0x11,0xd7,0xfa,0x04,0x02,0x00,0x01,0x1f,0x01,0xff]

v_pack_b32_f16_e64_dpp v5, v1.l, v2.l row_xmask:0
// GFX11: v_pack_b32_f16_e64_dpp v5, v1.l, v2.l row_xmask:0 row_mask:0xf bank_mask:0xf ; encoding: [0x05,0x00,0x11,0xd7,0xfa,0x04,0x02,0x00,0x01,0x60,0x01,0xff]

v_pack_b32_f16_e64_dpp v5, v1.l, v2.l row_xmask:15
// GFX11: v_pack_b32_f16_e64_dpp v5, v1.l, v2.l row_xmask:15 row_mask:0xf bank_mask:0xf ; encoding: [0x05,0x00,0x11,0xd7,0xfa,0x04,0x02,0x00,0x01,0x6f,0x01,0xff]

v_pack_b32_f16_e64_dpp v5, v1.l, v2.l quad_perm:[3,2,1,0] fi:0
// GFX11: v_pack_b32_f16_e64_dpp v5, v1.l, v2.l quad_perm:[3,2,1,0] row_mask:0xf bank_mask:0xf ; encoding: [0x05,0x00,0x11,0xd7,0xfa,0x04,0x02,0x00,0x01,0x1b,0x00,0xff]

v_pack_b32_f16_e64_dpp v5, v1.l, v2.l quad_perm:[3,2,1,0] fi:1
// GFX11: v_pack_b32_f16_e64_dpp v5, v1.l, v2.l quad_perm:[3,2,1,0] row_mask:0xf bank_mask:0xf fi:1 ; encoding: [0x05,0x00,0x11,0xd7,0xfa,0x04,0x02,0x00,0x01,0x1b,0x04,0xff]

v_pack_b32_f16_e64_dpp v5, v1.l, v2.l quad_perm:[3,2,1,0] row_mask:0x0 bank_mask:0x1
// GFX11: v_pack_b32_f16_e64_dpp v5, v1.l, v2.l quad_perm:[3,2,1,0] row_mask:0x0 bank_mask:0x1 ; encoding: [0x05,0x00,0x11,0xd7,0xfa,0x04,0x02,0x00,0x01,0x1b,0x00,0x01]

v_pack_b32_f16_e64_dpp v5, v1.l, v2.l quad_perm:[3,2,1,0] row_mask:0x3 bank_mask:0x0
// GFX11: v_pack_b32_f16_e64_dpp v5, v1.l, v2.l quad_perm:[3,2,1,0] row_mask:0x3 bank_mask:0x0 ; encoding: [0x05,0x00,0x11,0xd7,0xfa,0x04,0x02,0x00,0x01,0x1b,0x00,0x30]
	;; [unrolled: 3-line block ×3, first 2 shown]

v_pack_b32_f16_e64_dpp v5, v1.l, v2.l clamp quad_perm:[3,2,1,0]
// GFX11: v_pack_b32_f16_e64_dpp v5, v1.l, v2.l clamp quad_perm:[3,2,1,0] row_mask:0xf bank_mask:0xf ; encoding: [0x05,0x80,0x11,0xd7,0xfa,0x04,0x02,0x00,0x01,0x1b,0x00,0xff]

v_perm_b32_e64_dpp v5, v1, v2, v3 quad_perm:[3,2,1,0]
// GFX11: v_perm_b32_e64_dpp v5, v1, v2, v3 quad_perm:[3,2,1,0] row_mask:0xf bank_mask:0xf ; encoding: [0x05,0x00,0x44,0xd6,0xfa,0x04,0x0e,0x04,0x01,0x1b,0x00,0xff]

v_perm_b32_e64_dpp v255, v255, v255, v255 quad_perm:[3,2,1,0]
// GFX11: v_perm_b32_e64_dpp v255, v255, v255, v255 quad_perm:[3,2,1,0] row_mask:0xf bank_mask:0xf ; encoding: [0xff,0x00,0x44,0xd6,0xfa,0xfe,0xff,0x07,0xff,0x1b,0x00,0xff]

v_perm_b32_e64_dpp v5, v1, v2, -1 quad_perm:[3,2,1,0]
// GFX11: v_perm_b32_e64_dpp v5, v1, v2, -1 quad_perm:[3,2,1,0] row_mask:0xf bank_mask:0xf ; encoding: [0x05,0x00,0x44,0xd6,0xfa,0x04,0x06,0x03,0x01,0x1b,0x00,0xff]

v_perm_b32_e64_dpp v5, v1, v2, 0.5 quad_perm:[3,2,1,0]
// GFX11: v_perm_b32_e64_dpp v5, v1, v2, 0.5 quad_perm:[3,2,1,0] row_mask:0xf bank_mask:0xf ; encoding: [0x05,0x00,0x44,0xd6,0xfa,0x04,0xc2,0x03,0x01,0x1b,0x00,0xff]

v_perm_b32_e64_dpp v5, v1, v2, exec_hi quad_perm:[3,2,1,0]
// GFX11: v_perm_b32_e64_dpp v5, v1, v2, exec_hi quad_perm:[3,2,1,0] row_mask:0xf bank_mask:0xf ; encoding: [0x05,0x00,0x44,0xd6,0xfa,0x04,0xfe,0x01,0x01,0x1b,0x00,0xff]

v_perm_b32_e64_dpp v5, v1, v2, exec_lo quad_perm:[3,2,1,0]
// GFX11: v_perm_b32_e64_dpp v5, v1, v2, exec_lo quad_perm:[3,2,1,0] row_mask:0xf bank_mask:0xf ; encoding: [0x05,0x00,0x44,0xd6,0xfa,0x04,0xfa,0x01,0x01,0x1b,0x00,0xff]

v_perm_b32_e64_dpp v5, v1, v2, m0 quad_perm:[3,2,1,0]
// GFX11: v_perm_b32_e64_dpp v5, v1, v2, m0 quad_perm:[3,2,1,0] row_mask:0xf bank_mask:0xf ; encoding: [0x05,0x00,0x44,0xd6,0xfa,0x04,0xf6,0x01,0x01,0x1b,0x00,0xff]

v_perm_b32_e64_dpp v5, v1, v2, null quad_perm:[3,2,1,0]
// GFX11: v_perm_b32_e64_dpp v5, v1, v2, null quad_perm:[3,2,1,0] row_mask:0xf bank_mask:0xf ; encoding: [0x05,0x00,0x44,0xd6,0xfa,0x04,0xf2,0x01,0x01,0x1b,0x00,0xff]

v_perm_b32_e64_dpp v5, v1, v2, s105 quad_perm:[3,2,1,0]
// GFX11: v_perm_b32_e64_dpp v5, v1, v2, s105 quad_perm:[3,2,1,0] row_mask:0xf bank_mask:0xf ; encoding: [0x05,0x00,0x44,0xd6,0xfa,0x04,0xa6,0x01,0x01,0x1b,0x00,0xff]

v_perm_b32_e64_dpp v5, v1, v2, s3 quad_perm:[3,2,1,0]
// GFX11: v_perm_b32_e64_dpp v5, v1, v2, s3 quad_perm:[3,2,1,0] row_mask:0xf bank_mask:0xf ; encoding: [0x05,0x00,0x44,0xd6,0xfa,0x04,0x0e,0x00,0x01,0x1b,0x00,0xff]

v_perm_b32_e64_dpp v5, v1, v2, src_scc quad_perm:[3,2,1,0]
// GFX11: v_perm_b32_e64_dpp v5, v1, v2, src_scc quad_perm:[3,2,1,0] row_mask:0xf bank_mask:0xf ; encoding: [0x05,0x00,0x44,0xd6,0xfa,0x04,0xf6,0x03,0x01,0x1b,0x00,0xff]

v_perm_b32_e64_dpp v5, v1, v2, ttmp15 quad_perm:[3,2,1,0]
// GFX11: v_perm_b32_e64_dpp v5, v1, v2, ttmp15 quad_perm:[3,2,1,0] row_mask:0xf bank_mask:0xf ; encoding: [0x05,0x00,0x44,0xd6,0xfa,0x04,0xee,0x01,0x01,0x1b,0x00,0xff]

v_perm_b32_e64_dpp v5, v1, v2, v255 quad_perm:[3,2,1,0]
// GFX11: v_perm_b32_e64_dpp v5, v1, v2, v255 quad_perm:[3,2,1,0] row_mask:0xf bank_mask:0xf ; encoding: [0x05,0x00,0x44,0xd6,0xfa,0x04,0xfe,0x07,0x01,0x1b,0x00,0xff]

v_perm_b32_e64_dpp v5, v1, v2, vcc_hi quad_perm:[3,2,1,0]
// GFX11: v_perm_b32_e64_dpp v5, v1, v2, vcc_hi quad_perm:[3,2,1,0] row_mask:0xf bank_mask:0xf ; encoding: [0x05,0x00,0x44,0xd6,0xfa,0x04,0xae,0x01,0x01,0x1b,0x00,0xff]

v_perm_b32_e64_dpp v5, v1, v2, vcc_lo quad_perm:[3,2,1,0]
// GFX11: v_perm_b32_e64_dpp v5, v1, v2, vcc_lo quad_perm:[3,2,1,0] row_mask:0xf bank_mask:0xf ; encoding: [0x05,0x00,0x44,0xd6,0xfa,0x04,0xaa,0x01,0x01,0x1b,0x00,0xff]

v_perm_b32_e64_dpp v5, v1, v2, v3 quad_perm:[3,2,1,0] bound_ctrl:0
// GFX11: v_perm_b32_e64_dpp v5, v1, v2, v3 quad_perm:[3,2,1,0] row_mask:0xf bank_mask:0xf ; encoding: [0x05,0x00,0x44,0xd6,0xfa,0x04,0x0e,0x04,0x01,0x1b,0x00,0xff]

v_perm_b32_e64_dpp v5, v1, v2, v3 quad_perm:[3,2,1,0] bound_ctrl:1
// GFX11: v_perm_b32_e64_dpp v5, v1, v2, v3 quad_perm:[3,2,1,0] row_mask:0xf bank_mask:0xf bound_ctrl:1 ; encoding: [0x05,0x00,0x44,0xd6,0xfa,0x04,0x0e,0x04,0x01,0x1b,0x08,0xff]

v_perm_b32_e64_dpp v5, v1, v2, v3 quad_perm:[0,1,2,3]
// GFX11: v_perm_b32_e64_dpp v5, v1, v2, v3 quad_perm:[0,1,2,3] row_mask:0xf bank_mask:0xf ; encoding: [0x05,0x00,0x44,0xd6,0xfa,0x04,0x0e,0x04,0x01,0xe4,0x00,0xff]

v_perm_b32_e64_dpp v5, v1, v2, v3 row_half_mirror
// GFX11: v_perm_b32_e64_dpp v5, v1, v2, v3 row_half_mirror row_mask:0xf bank_mask:0xf ; encoding: [0x05,0x00,0x44,0xd6,0xfa,0x04,0x0e,0x04,0x01,0x41,0x01,0xff]

v_perm_b32_e64_dpp v5, v1, v2, v3 row_mirror
// GFX11: v_perm_b32_e64_dpp v5, v1, v2, v3 row_mirror row_mask:0xf bank_mask:0xf ; encoding: [0x05,0x00,0x44,0xd6,0xfa,0x04,0x0e,0x04,0x01,0x40,0x01,0xff]

v_perm_b32_e64_dpp v5, v1, v2, v3 row_ror:1
// GFX11: v_perm_b32_e64_dpp v5, v1, v2, v3 row_ror:1 row_mask:0xf bank_mask:0xf ; encoding: [0x05,0x00,0x44,0xd6,0xfa,0x04,0x0e,0x04,0x01,0x21,0x01,0xff]

v_perm_b32_e64_dpp v5, v1, v2, v3 row_ror:15
// GFX11: v_perm_b32_e64_dpp v5, v1, v2, v3 row_ror:15 row_mask:0xf bank_mask:0xf ; encoding: [0x05,0x00,0x44,0xd6,0xfa,0x04,0x0e,0x04,0x01,0x2f,0x01,0xff]

v_perm_b32_e64_dpp v5, v1, v2, v3 row_share:0
// GFX11: v_perm_b32_e64_dpp v5, v1, v2, v3 row_share:0 row_mask:0xf bank_mask:0xf ; encoding: [0x05,0x00,0x44,0xd6,0xfa,0x04,0x0e,0x04,0x01,0x50,0x01,0xff]

v_perm_b32_e64_dpp v5, v1, v2, v3 row_share:15
// GFX11: v_perm_b32_e64_dpp v5, v1, v2, v3 row_share:15 row_mask:0xf bank_mask:0xf ; encoding: [0x05,0x00,0x44,0xd6,0xfa,0x04,0x0e,0x04,0x01,0x5f,0x01,0xff]

v_perm_b32_e64_dpp v5, v1, v2, v3 row_shl:1
// GFX11: v_perm_b32_e64_dpp v5, v1, v2, v3 row_shl:1 row_mask:0xf bank_mask:0xf ; encoding: [0x05,0x00,0x44,0xd6,0xfa,0x04,0x0e,0x04,0x01,0x01,0x01,0xff]

v_perm_b32_e64_dpp v5, v1, v2, v3 row_shl:15
// GFX11: v_perm_b32_e64_dpp v5, v1, v2, v3 row_shl:15 row_mask:0xf bank_mask:0xf ; encoding: [0x05,0x00,0x44,0xd6,0xfa,0x04,0x0e,0x04,0x01,0x0f,0x01,0xff]

v_perm_b32_e64_dpp v5, v1, v2, v3 row_shr:1
// GFX11: v_perm_b32_e64_dpp v5, v1, v2, v3 row_shr:1 row_mask:0xf bank_mask:0xf ; encoding: [0x05,0x00,0x44,0xd6,0xfa,0x04,0x0e,0x04,0x01,0x11,0x01,0xff]

v_perm_b32_e64_dpp v5, v1, v2, v3 row_shr:15
// GFX11: v_perm_b32_e64_dpp v5, v1, v2, v3 row_shr:15 row_mask:0xf bank_mask:0xf ; encoding: [0x05,0x00,0x44,0xd6,0xfa,0x04,0x0e,0x04,0x01,0x1f,0x01,0xff]

v_perm_b32_e64_dpp v5, v1, v2, v3 row_xmask:0
// GFX11: v_perm_b32_e64_dpp v5, v1, v2, v3 row_xmask:0 row_mask:0xf bank_mask:0xf ; encoding: [0x05,0x00,0x44,0xd6,0xfa,0x04,0x0e,0x04,0x01,0x60,0x01,0xff]

v_perm_b32_e64_dpp v5, v1, v2, v3 row_xmask:15
// GFX11: v_perm_b32_e64_dpp v5, v1, v2, v3 row_xmask:15 row_mask:0xf bank_mask:0xf ; encoding: [0x05,0x00,0x44,0xd6,0xfa,0x04,0x0e,0x04,0x01,0x6f,0x01,0xff]

v_perm_b32_e64_dpp v5, v1, v2, v3 quad_perm:[3,2,1,0] fi:0
// GFX11: v_perm_b32_e64_dpp v5, v1, v2, v3 quad_perm:[3,2,1,0] row_mask:0xf bank_mask:0xf ; encoding: [0x05,0x00,0x44,0xd6,0xfa,0x04,0x0e,0x04,0x01,0x1b,0x00,0xff]

v_perm_b32_e64_dpp v5, v1, v2, v3 quad_perm:[3,2,1,0] fi:1
// GFX11: v_perm_b32_e64_dpp v5, v1, v2, v3 quad_perm:[3,2,1,0] row_mask:0xf bank_mask:0xf fi:1 ; encoding: [0x05,0x00,0x44,0xd6,0xfa,0x04,0x0e,0x04,0x01,0x1b,0x04,0xff]

v_perm_b32_e64_dpp v5, v1, v2, v3 quad_perm:[3,2,1,0] row_mask:0x0 bank_mask:0x1
// GFX11: v_perm_b32_e64_dpp v5, v1, v2, v3 quad_perm:[3,2,1,0] row_mask:0x0 bank_mask:0x1 ; encoding: [0x05,0x00,0x44,0xd6,0xfa,0x04,0x0e,0x04,0x01,0x1b,0x00,0x01]

v_perm_b32_e64_dpp v5, v1, v2, v3 quad_perm:[3,2,1,0] row_mask:0x3 bank_mask:0x0
// GFX11: v_perm_b32_e64_dpp v5, v1, v2, v3 quad_perm:[3,2,1,0] row_mask:0x3 bank_mask:0x0 ; encoding: [0x05,0x00,0x44,0xd6,0xfa,0x04,0x0e,0x04,0x01,0x1b,0x00,0x30]
	;; [unrolled: 3-line block ×3, first 2 shown]

v_sad_hi_u8_e64_dpp v5, v1, v2, v3 quad_perm:[3,2,1,0]
// GFX11: v_sad_hi_u8_e64_dpp v5, v1, v2, v3 quad_perm:[3,2,1,0] row_mask:0xf bank_mask:0xf ; encoding: [0x05,0x00,0x23,0xd6,0xfa,0x04,0x0e,0x04,0x01,0x1b,0x00,0xff]

v_sad_hi_u8_e64_dpp v255, v255, v255, v255 quad_perm:[3,2,1,0]
// GFX11: v_sad_hi_u8_e64_dpp v255, v255, v255, v255 quad_perm:[3,2,1,0] row_mask:0xf bank_mask:0xf ; encoding: [0xff,0x00,0x23,0xd6,0xfa,0xfe,0xff,0x07,0xff,0x1b,0x00,0xff]

v_sad_hi_u8_e64_dpp v5, v1, v2, -1 quad_perm:[3,2,1,0]
// GFX11: v_sad_hi_u8_e64_dpp v5, v1, v2, -1 quad_perm:[3,2,1,0] row_mask:0xf bank_mask:0xf ; encoding: [0x05,0x00,0x23,0xd6,0xfa,0x04,0x06,0x03,0x01,0x1b,0x00,0xff]

v_sad_hi_u8_e64_dpp v5, v1, v2, 0.5 quad_perm:[3,2,1,0]
// GFX11: v_sad_hi_u8_e64_dpp v5, v1, v2, 0.5 quad_perm:[3,2,1,0] row_mask:0xf bank_mask:0xf ; encoding: [0x05,0x00,0x23,0xd6,0xfa,0x04,0xc2,0x03,0x01,0x1b,0x00,0xff]

v_sad_hi_u8_e64_dpp v5, v1, v2, exec_hi quad_perm:[3,2,1,0]
// GFX11: v_sad_hi_u8_e64_dpp v5, v1, v2, exec_hi quad_perm:[3,2,1,0] row_mask:0xf bank_mask:0xf ; encoding: [0x05,0x00,0x23,0xd6,0xfa,0x04,0xfe,0x01,0x01,0x1b,0x00,0xff]

v_sad_hi_u8_e64_dpp v5, v1, v2, exec_lo quad_perm:[3,2,1,0]
// GFX11: v_sad_hi_u8_e64_dpp v5, v1, v2, exec_lo quad_perm:[3,2,1,0] row_mask:0xf bank_mask:0xf ; encoding: [0x05,0x00,0x23,0xd6,0xfa,0x04,0xfa,0x01,0x01,0x1b,0x00,0xff]

v_sad_hi_u8_e64_dpp v5, v1, v2, m0 quad_perm:[3,2,1,0]
// GFX11: v_sad_hi_u8_e64_dpp v5, v1, v2, m0 quad_perm:[3,2,1,0] row_mask:0xf bank_mask:0xf ; encoding: [0x05,0x00,0x23,0xd6,0xfa,0x04,0xf6,0x01,0x01,0x1b,0x00,0xff]

v_sad_hi_u8_e64_dpp v5, v1, v2, null quad_perm:[3,2,1,0]
// GFX11: v_sad_hi_u8_e64_dpp v5, v1, v2, null quad_perm:[3,2,1,0] row_mask:0xf bank_mask:0xf ; encoding: [0x05,0x00,0x23,0xd6,0xfa,0x04,0xf2,0x01,0x01,0x1b,0x00,0xff]

v_sad_hi_u8_e64_dpp v5, v1, v2, s105 quad_perm:[3,2,1,0]
// GFX11: v_sad_hi_u8_e64_dpp v5, v1, v2, s105 quad_perm:[3,2,1,0] row_mask:0xf bank_mask:0xf ; encoding: [0x05,0x00,0x23,0xd6,0xfa,0x04,0xa6,0x01,0x01,0x1b,0x00,0xff]

v_sad_hi_u8_e64_dpp v5, v1, v2, s3 quad_perm:[3,2,1,0]
// GFX11: v_sad_hi_u8_e64_dpp v5, v1, v2, s3 quad_perm:[3,2,1,0] row_mask:0xf bank_mask:0xf ; encoding: [0x05,0x00,0x23,0xd6,0xfa,0x04,0x0e,0x00,0x01,0x1b,0x00,0xff]

v_sad_hi_u8_e64_dpp v5, v1, v2, src_scc quad_perm:[3,2,1,0]
// GFX11: v_sad_hi_u8_e64_dpp v5, v1, v2, src_scc quad_perm:[3,2,1,0] row_mask:0xf bank_mask:0xf ; encoding: [0x05,0x00,0x23,0xd6,0xfa,0x04,0xf6,0x03,0x01,0x1b,0x00,0xff]

v_sad_hi_u8_e64_dpp v5, v1, v2, ttmp15 quad_perm:[3,2,1,0]
// GFX11: v_sad_hi_u8_e64_dpp v5, v1, v2, ttmp15 quad_perm:[3,2,1,0] row_mask:0xf bank_mask:0xf ; encoding: [0x05,0x00,0x23,0xd6,0xfa,0x04,0xee,0x01,0x01,0x1b,0x00,0xff]

v_sad_hi_u8_e64_dpp v5, v1, v2, v255 quad_perm:[3,2,1,0]
// GFX11: v_sad_hi_u8_e64_dpp v5, v1, v2, v255 quad_perm:[3,2,1,0] row_mask:0xf bank_mask:0xf ; encoding: [0x05,0x00,0x23,0xd6,0xfa,0x04,0xfe,0x07,0x01,0x1b,0x00,0xff]

v_sad_hi_u8_e64_dpp v5, v1, v2, vcc_hi quad_perm:[3,2,1,0]
// GFX11: v_sad_hi_u8_e64_dpp v5, v1, v2, vcc_hi quad_perm:[3,2,1,0] row_mask:0xf bank_mask:0xf ; encoding: [0x05,0x00,0x23,0xd6,0xfa,0x04,0xae,0x01,0x01,0x1b,0x00,0xff]

v_sad_hi_u8_e64_dpp v5, v1, v2, vcc_lo quad_perm:[3,2,1,0]
// GFX11: v_sad_hi_u8_e64_dpp v5, v1, v2, vcc_lo quad_perm:[3,2,1,0] row_mask:0xf bank_mask:0xf ; encoding: [0x05,0x00,0x23,0xd6,0xfa,0x04,0xaa,0x01,0x01,0x1b,0x00,0xff]

v_sad_hi_u8_e64_dpp v5, v1, v2, v3 quad_perm:[3,2,1,0] bound_ctrl:0
// GFX11: v_sad_hi_u8_e64_dpp v5, v1, v2, v3 quad_perm:[3,2,1,0] row_mask:0xf bank_mask:0xf ; encoding: [0x05,0x00,0x23,0xd6,0xfa,0x04,0x0e,0x04,0x01,0x1b,0x00,0xff]

v_sad_hi_u8_e64_dpp v5, v1, v2, v3 quad_perm:[3,2,1,0] bound_ctrl:1
// GFX11: v_sad_hi_u8_e64_dpp v5, v1, v2, v3 quad_perm:[3,2,1,0] row_mask:0xf bank_mask:0xf bound_ctrl:1 ; encoding: [0x05,0x00,0x23,0xd6,0xfa,0x04,0x0e,0x04,0x01,0x1b,0x08,0xff]

v_sad_hi_u8_e64_dpp v5, v1, v2, v3 quad_perm:[0,1,2,3]
// GFX11: v_sad_hi_u8_e64_dpp v5, v1, v2, v3 quad_perm:[0,1,2,3] row_mask:0xf bank_mask:0xf ; encoding: [0x05,0x00,0x23,0xd6,0xfa,0x04,0x0e,0x04,0x01,0xe4,0x00,0xff]

v_sad_hi_u8_e64_dpp v5, v1, v2, v3 row_half_mirror
// GFX11: v_sad_hi_u8_e64_dpp v5, v1, v2, v3 row_half_mirror row_mask:0xf bank_mask:0xf ; encoding: [0x05,0x00,0x23,0xd6,0xfa,0x04,0x0e,0x04,0x01,0x41,0x01,0xff]

v_sad_hi_u8_e64_dpp v5, v1, v2, v3 row_mirror
// GFX11: v_sad_hi_u8_e64_dpp v5, v1, v2, v3 row_mirror row_mask:0xf bank_mask:0xf ; encoding: [0x05,0x00,0x23,0xd6,0xfa,0x04,0x0e,0x04,0x01,0x40,0x01,0xff]

v_sad_hi_u8_e64_dpp v5, v1, v2, v3 row_ror:1
// GFX11: v_sad_hi_u8_e64_dpp v5, v1, v2, v3 row_ror:1 row_mask:0xf bank_mask:0xf ; encoding: [0x05,0x00,0x23,0xd6,0xfa,0x04,0x0e,0x04,0x01,0x21,0x01,0xff]

v_sad_hi_u8_e64_dpp v5, v1, v2, v3 row_ror:15
// GFX11: v_sad_hi_u8_e64_dpp v5, v1, v2, v3 row_ror:15 row_mask:0xf bank_mask:0xf ; encoding: [0x05,0x00,0x23,0xd6,0xfa,0x04,0x0e,0x04,0x01,0x2f,0x01,0xff]

v_sad_hi_u8_e64_dpp v5, v1, v2, v3 row_share:0
// GFX11: v_sad_hi_u8_e64_dpp v5, v1, v2, v3 row_share:0 row_mask:0xf bank_mask:0xf ; encoding: [0x05,0x00,0x23,0xd6,0xfa,0x04,0x0e,0x04,0x01,0x50,0x01,0xff]

v_sad_hi_u8_e64_dpp v5, v1, v2, v3 row_share:15
// GFX11: v_sad_hi_u8_e64_dpp v5, v1, v2, v3 row_share:15 row_mask:0xf bank_mask:0xf ; encoding: [0x05,0x00,0x23,0xd6,0xfa,0x04,0x0e,0x04,0x01,0x5f,0x01,0xff]

v_sad_hi_u8_e64_dpp v5, v1, v2, v3 row_shl:1
// GFX11: v_sad_hi_u8_e64_dpp v5, v1, v2, v3 row_shl:1 row_mask:0xf bank_mask:0xf ; encoding: [0x05,0x00,0x23,0xd6,0xfa,0x04,0x0e,0x04,0x01,0x01,0x01,0xff]

v_sad_hi_u8_e64_dpp v5, v1, v2, v3 row_shl:15
// GFX11: v_sad_hi_u8_e64_dpp v5, v1, v2, v3 row_shl:15 row_mask:0xf bank_mask:0xf ; encoding: [0x05,0x00,0x23,0xd6,0xfa,0x04,0x0e,0x04,0x01,0x0f,0x01,0xff]

v_sad_hi_u8_e64_dpp v5, v1, v2, v3 row_shr:1
// GFX11: v_sad_hi_u8_e64_dpp v5, v1, v2, v3 row_shr:1 row_mask:0xf bank_mask:0xf ; encoding: [0x05,0x00,0x23,0xd6,0xfa,0x04,0x0e,0x04,0x01,0x11,0x01,0xff]

v_sad_hi_u8_e64_dpp v5, v1, v2, v3 row_shr:15
// GFX11: v_sad_hi_u8_e64_dpp v5, v1, v2, v3 row_shr:15 row_mask:0xf bank_mask:0xf ; encoding: [0x05,0x00,0x23,0xd6,0xfa,0x04,0x0e,0x04,0x01,0x1f,0x01,0xff]

v_sad_hi_u8_e64_dpp v5, v1, v2, v3 row_xmask:0
// GFX11: v_sad_hi_u8_e64_dpp v5, v1, v2, v3 row_xmask:0 row_mask:0xf bank_mask:0xf ; encoding: [0x05,0x00,0x23,0xd6,0xfa,0x04,0x0e,0x04,0x01,0x60,0x01,0xff]

v_sad_hi_u8_e64_dpp v5, v1, v2, v3 row_xmask:15
// GFX11: v_sad_hi_u8_e64_dpp v5, v1, v2, v3 row_xmask:15 row_mask:0xf bank_mask:0xf ; encoding: [0x05,0x00,0x23,0xd6,0xfa,0x04,0x0e,0x04,0x01,0x6f,0x01,0xff]

v_sad_hi_u8_e64_dpp v5, v1, v2, v3 quad_perm:[3,2,1,0] fi:0
// GFX11: v_sad_hi_u8_e64_dpp v5, v1, v2, v3 quad_perm:[3,2,1,0] row_mask:0xf bank_mask:0xf ; encoding: [0x05,0x00,0x23,0xd6,0xfa,0x04,0x0e,0x04,0x01,0x1b,0x00,0xff]

v_sad_hi_u8_e64_dpp v5, v1, v2, v3 quad_perm:[3,2,1,0] fi:1
// GFX11: v_sad_hi_u8_e64_dpp v5, v1, v2, v3 quad_perm:[3,2,1,0] row_mask:0xf bank_mask:0xf fi:1 ; encoding: [0x05,0x00,0x23,0xd6,0xfa,0x04,0x0e,0x04,0x01,0x1b,0x04,0xff]

v_sad_hi_u8_e64_dpp v5, v1, v2, v3 quad_perm:[3,2,1,0] row_mask:0x0 bank_mask:0x1
// GFX11: v_sad_hi_u8_e64_dpp v5, v1, v2, v3 quad_perm:[3,2,1,0] row_mask:0x0 bank_mask:0x1 ; encoding: [0x05,0x00,0x23,0xd6,0xfa,0x04,0x0e,0x04,0x01,0x1b,0x00,0x01]

v_sad_hi_u8_e64_dpp v5, v1, v2, v3 quad_perm:[3,2,1,0] row_mask:0x3 bank_mask:0x0
// GFX11: v_sad_hi_u8_e64_dpp v5, v1, v2, v3 quad_perm:[3,2,1,0] row_mask:0x3 bank_mask:0x0 ; encoding: [0x05,0x00,0x23,0xd6,0xfa,0x04,0x0e,0x04,0x01,0x1b,0x00,0x30]
	;; [unrolled: 3-line block ×3, first 2 shown]

v_sad_hi_u8_e64_dpp v5, v1, v2, v3 clamp quad_perm:[3,2,1,0]
// GFX11: v_sad_hi_u8_e64_dpp v5, v1, v2, v3 clamp quad_perm:[3,2,1,0] row_mask:0xf bank_mask:0xf ; encoding: [0x05,0x80,0x23,0xd6,0xfa,0x04,0x0e,0x04,0x01,0x1b,0x00,0xff]

v_sad_u16_e64_dpp v5, v1, v2, v3 quad_perm:[3,2,1,0]
// GFX11: v_sad_u16_e64_dpp v5, v1, v2, v3 quad_perm:[3,2,1,0] row_mask:0xf bank_mask:0xf ; encoding: [0x05,0x00,0x24,0xd6,0xfa,0x04,0x0e,0x04,0x01,0x1b,0x00,0xff]

v_sad_u16_e64_dpp v255, v255, v255, v255 quad_perm:[3,2,1,0]
// GFX11: v_sad_u16_e64_dpp v255, v255, v255, v255 quad_perm:[3,2,1,0] row_mask:0xf bank_mask:0xf ; encoding: [0xff,0x00,0x24,0xd6,0xfa,0xfe,0xff,0x07,0xff,0x1b,0x00,0xff]

v_sad_u16_e64_dpp v5, v1, v2, -1 quad_perm:[3,2,1,0]
// GFX11: v_sad_u16_e64_dpp v5, v1, v2, -1 quad_perm:[3,2,1,0] row_mask:0xf bank_mask:0xf ; encoding: [0x05,0x00,0x24,0xd6,0xfa,0x04,0x06,0x03,0x01,0x1b,0x00,0xff]

v_sad_u16_e64_dpp v5, v1, v2, 0.5 quad_perm:[3,2,1,0]
// GFX11: v_sad_u16_e64_dpp v5, v1, v2, 0.5 quad_perm:[3,2,1,0] row_mask:0xf bank_mask:0xf ; encoding: [0x05,0x00,0x24,0xd6,0xfa,0x04,0xc2,0x03,0x01,0x1b,0x00,0xff]

v_sad_u16_e64_dpp v5, v1, v2, exec_hi quad_perm:[3,2,1,0]
// GFX11: v_sad_u16_e64_dpp v5, v1, v2, exec_hi quad_perm:[3,2,1,0] row_mask:0xf bank_mask:0xf ; encoding: [0x05,0x00,0x24,0xd6,0xfa,0x04,0xfe,0x01,0x01,0x1b,0x00,0xff]

v_sad_u16_e64_dpp v5, v1, v2, exec_lo quad_perm:[3,2,1,0]
// GFX11: v_sad_u16_e64_dpp v5, v1, v2, exec_lo quad_perm:[3,2,1,0] row_mask:0xf bank_mask:0xf ; encoding: [0x05,0x00,0x24,0xd6,0xfa,0x04,0xfa,0x01,0x01,0x1b,0x00,0xff]

v_sad_u16_e64_dpp v5, v1, v2, m0 quad_perm:[3,2,1,0]
// GFX11: v_sad_u16_e64_dpp v5, v1, v2, m0 quad_perm:[3,2,1,0] row_mask:0xf bank_mask:0xf ; encoding: [0x05,0x00,0x24,0xd6,0xfa,0x04,0xf6,0x01,0x01,0x1b,0x00,0xff]

v_sad_u16_e64_dpp v5, v1, v2, null quad_perm:[3,2,1,0]
// GFX11: v_sad_u16_e64_dpp v5, v1, v2, null quad_perm:[3,2,1,0] row_mask:0xf bank_mask:0xf ; encoding: [0x05,0x00,0x24,0xd6,0xfa,0x04,0xf2,0x01,0x01,0x1b,0x00,0xff]

v_sad_u16_e64_dpp v5, v1, v2, s105 quad_perm:[3,2,1,0]
// GFX11: v_sad_u16_e64_dpp v5, v1, v2, s105 quad_perm:[3,2,1,0] row_mask:0xf bank_mask:0xf ; encoding: [0x05,0x00,0x24,0xd6,0xfa,0x04,0xa6,0x01,0x01,0x1b,0x00,0xff]

v_sad_u16_e64_dpp v5, v1, v2, s3 quad_perm:[3,2,1,0]
// GFX11: v_sad_u16_e64_dpp v5, v1, v2, s3 quad_perm:[3,2,1,0] row_mask:0xf bank_mask:0xf ; encoding: [0x05,0x00,0x24,0xd6,0xfa,0x04,0x0e,0x00,0x01,0x1b,0x00,0xff]

v_sad_u16_e64_dpp v5, v1, v2, src_scc quad_perm:[3,2,1,0]
// GFX11: v_sad_u16_e64_dpp v5, v1, v2, src_scc quad_perm:[3,2,1,0] row_mask:0xf bank_mask:0xf ; encoding: [0x05,0x00,0x24,0xd6,0xfa,0x04,0xf6,0x03,0x01,0x1b,0x00,0xff]

v_sad_u16_e64_dpp v5, v1, v2, ttmp15 quad_perm:[3,2,1,0]
// GFX11: v_sad_u16_e64_dpp v5, v1, v2, ttmp15 quad_perm:[3,2,1,0] row_mask:0xf bank_mask:0xf ; encoding: [0x05,0x00,0x24,0xd6,0xfa,0x04,0xee,0x01,0x01,0x1b,0x00,0xff]

v_sad_u16_e64_dpp v5, v1, v2, v255 quad_perm:[3,2,1,0]
// GFX11: v_sad_u16_e64_dpp v5, v1, v2, v255 quad_perm:[3,2,1,0] row_mask:0xf bank_mask:0xf ; encoding: [0x05,0x00,0x24,0xd6,0xfa,0x04,0xfe,0x07,0x01,0x1b,0x00,0xff]

v_sad_u16_e64_dpp v5, v1, v2, vcc_hi quad_perm:[3,2,1,0]
// GFX11: v_sad_u16_e64_dpp v5, v1, v2, vcc_hi quad_perm:[3,2,1,0] row_mask:0xf bank_mask:0xf ; encoding: [0x05,0x00,0x24,0xd6,0xfa,0x04,0xae,0x01,0x01,0x1b,0x00,0xff]

v_sad_u16_e64_dpp v5, v1, v2, vcc_lo quad_perm:[3,2,1,0]
// GFX11: v_sad_u16_e64_dpp v5, v1, v2, vcc_lo quad_perm:[3,2,1,0] row_mask:0xf bank_mask:0xf ; encoding: [0x05,0x00,0x24,0xd6,0xfa,0x04,0xaa,0x01,0x01,0x1b,0x00,0xff]

v_sad_u16_e64_dpp v5, v1, v2, v3 quad_perm:[3,2,1,0] bound_ctrl:0
// GFX11: v_sad_u16_e64_dpp v5, v1, v2, v3 quad_perm:[3,2,1,0] row_mask:0xf bank_mask:0xf ; encoding: [0x05,0x00,0x24,0xd6,0xfa,0x04,0x0e,0x04,0x01,0x1b,0x00,0xff]

v_sad_u16_e64_dpp v5, v1, v2, v3 quad_perm:[3,2,1,0] bound_ctrl:1
// GFX11: v_sad_u16_e64_dpp v5, v1, v2, v3 quad_perm:[3,2,1,0] row_mask:0xf bank_mask:0xf bound_ctrl:1 ; encoding: [0x05,0x00,0x24,0xd6,0xfa,0x04,0x0e,0x04,0x01,0x1b,0x08,0xff]

v_sad_u16_e64_dpp v5, v1, v2, v3 quad_perm:[0,1,2,3]
// GFX11: v_sad_u16_e64_dpp v5, v1, v2, v3 quad_perm:[0,1,2,3] row_mask:0xf bank_mask:0xf ; encoding: [0x05,0x00,0x24,0xd6,0xfa,0x04,0x0e,0x04,0x01,0xe4,0x00,0xff]

v_sad_u16_e64_dpp v5, v1, v2, v3 row_half_mirror
// GFX11: v_sad_u16_e64_dpp v5, v1, v2, v3 row_half_mirror row_mask:0xf bank_mask:0xf ; encoding: [0x05,0x00,0x24,0xd6,0xfa,0x04,0x0e,0x04,0x01,0x41,0x01,0xff]

v_sad_u16_e64_dpp v5, v1, v2, v3 row_mirror
// GFX11: v_sad_u16_e64_dpp v5, v1, v2, v3 row_mirror row_mask:0xf bank_mask:0xf ; encoding: [0x05,0x00,0x24,0xd6,0xfa,0x04,0x0e,0x04,0x01,0x40,0x01,0xff]

v_sad_u16_e64_dpp v5, v1, v2, v3 row_ror:1
// GFX11: v_sad_u16_e64_dpp v5, v1, v2, v3 row_ror:1 row_mask:0xf bank_mask:0xf ; encoding: [0x05,0x00,0x24,0xd6,0xfa,0x04,0x0e,0x04,0x01,0x21,0x01,0xff]

v_sad_u16_e64_dpp v5, v1, v2, v3 row_ror:15
// GFX11: v_sad_u16_e64_dpp v5, v1, v2, v3 row_ror:15 row_mask:0xf bank_mask:0xf ; encoding: [0x05,0x00,0x24,0xd6,0xfa,0x04,0x0e,0x04,0x01,0x2f,0x01,0xff]

v_sad_u16_e64_dpp v5, v1, v2, v3 row_share:0
// GFX11: v_sad_u16_e64_dpp v5, v1, v2, v3 row_share:0 row_mask:0xf bank_mask:0xf ; encoding: [0x05,0x00,0x24,0xd6,0xfa,0x04,0x0e,0x04,0x01,0x50,0x01,0xff]

v_sad_u16_e64_dpp v5, v1, v2, v3 row_share:15
// GFX11: v_sad_u16_e64_dpp v5, v1, v2, v3 row_share:15 row_mask:0xf bank_mask:0xf ; encoding: [0x05,0x00,0x24,0xd6,0xfa,0x04,0x0e,0x04,0x01,0x5f,0x01,0xff]

v_sad_u16_e64_dpp v5, v1, v2, v3 row_shl:1
// GFX11: v_sad_u16_e64_dpp v5, v1, v2, v3 row_shl:1 row_mask:0xf bank_mask:0xf ; encoding: [0x05,0x00,0x24,0xd6,0xfa,0x04,0x0e,0x04,0x01,0x01,0x01,0xff]

v_sad_u16_e64_dpp v5, v1, v2, v3 row_shl:15
// GFX11: v_sad_u16_e64_dpp v5, v1, v2, v3 row_shl:15 row_mask:0xf bank_mask:0xf ; encoding: [0x05,0x00,0x24,0xd6,0xfa,0x04,0x0e,0x04,0x01,0x0f,0x01,0xff]

v_sad_u16_e64_dpp v5, v1, v2, v3 row_shr:1
// GFX11: v_sad_u16_e64_dpp v5, v1, v2, v3 row_shr:1 row_mask:0xf bank_mask:0xf ; encoding: [0x05,0x00,0x24,0xd6,0xfa,0x04,0x0e,0x04,0x01,0x11,0x01,0xff]

v_sad_u16_e64_dpp v5, v1, v2, v3 row_shr:15
// GFX11: v_sad_u16_e64_dpp v5, v1, v2, v3 row_shr:15 row_mask:0xf bank_mask:0xf ; encoding: [0x05,0x00,0x24,0xd6,0xfa,0x04,0x0e,0x04,0x01,0x1f,0x01,0xff]

v_sad_u16_e64_dpp v5, v1, v2, v3 row_xmask:0
// GFX11: v_sad_u16_e64_dpp v5, v1, v2, v3 row_xmask:0 row_mask:0xf bank_mask:0xf ; encoding: [0x05,0x00,0x24,0xd6,0xfa,0x04,0x0e,0x04,0x01,0x60,0x01,0xff]

v_sad_u16_e64_dpp v5, v1, v2, v3 row_xmask:15
// GFX11: v_sad_u16_e64_dpp v5, v1, v2, v3 row_xmask:15 row_mask:0xf bank_mask:0xf ; encoding: [0x05,0x00,0x24,0xd6,0xfa,0x04,0x0e,0x04,0x01,0x6f,0x01,0xff]

v_sad_u16_e64_dpp v5, v1, v2, v3 quad_perm:[3,2,1,0] fi:0
// GFX11: v_sad_u16_e64_dpp v5, v1, v2, v3 quad_perm:[3,2,1,0] row_mask:0xf bank_mask:0xf ; encoding: [0x05,0x00,0x24,0xd6,0xfa,0x04,0x0e,0x04,0x01,0x1b,0x00,0xff]

v_sad_u16_e64_dpp v5, v1, v2, v3 quad_perm:[3,2,1,0] fi:1
// GFX11: v_sad_u16_e64_dpp v5, v1, v2, v3 quad_perm:[3,2,1,0] row_mask:0xf bank_mask:0xf fi:1 ; encoding: [0x05,0x00,0x24,0xd6,0xfa,0x04,0x0e,0x04,0x01,0x1b,0x04,0xff]

v_sad_u16_e64_dpp v5, v1, v2, v3 quad_perm:[3,2,1,0] row_mask:0x0 bank_mask:0x1
// GFX11: v_sad_u16_e64_dpp v5, v1, v2, v3 quad_perm:[3,2,1,0] row_mask:0x0 bank_mask:0x1 ; encoding: [0x05,0x00,0x24,0xd6,0xfa,0x04,0x0e,0x04,0x01,0x1b,0x00,0x01]

v_sad_u16_e64_dpp v5, v1, v2, v3 quad_perm:[3,2,1,0] row_mask:0x3 bank_mask:0x0
// GFX11: v_sad_u16_e64_dpp v5, v1, v2, v3 quad_perm:[3,2,1,0] row_mask:0x3 bank_mask:0x0 ; encoding: [0x05,0x00,0x24,0xd6,0xfa,0x04,0x0e,0x04,0x01,0x1b,0x00,0x30]
	;; [unrolled: 3-line block ×3, first 2 shown]

v_sad_u16_e64_dpp v5, v1, v2, v3 clamp quad_perm:[3,2,1,0]
// GFX11: v_sad_u16_e64_dpp v5, v1, v2, v3 clamp quad_perm:[3,2,1,0] row_mask:0xf bank_mask:0xf ; encoding: [0x05,0x80,0x24,0xd6,0xfa,0x04,0x0e,0x04,0x01,0x1b,0x00,0xff]

v_sad_u32_e64_dpp v5, v1, v2, v3 quad_perm:[3,2,1,0]
// GFX11: v_sad_u32_e64_dpp v5, v1, v2, v3 quad_perm:[3,2,1,0] row_mask:0xf bank_mask:0xf ; encoding: [0x05,0x00,0x25,0xd6,0xfa,0x04,0x0e,0x04,0x01,0x1b,0x00,0xff]

v_sad_u32_e64_dpp v255, v255, v255, v255 quad_perm:[3,2,1,0]
// GFX11: v_sad_u32_e64_dpp v255, v255, v255, v255 quad_perm:[3,2,1,0] row_mask:0xf bank_mask:0xf ; encoding: [0xff,0x00,0x25,0xd6,0xfa,0xfe,0xff,0x07,0xff,0x1b,0x00,0xff]

v_sad_u32_e64_dpp v5, v1, v2, -1 quad_perm:[3,2,1,0]
// GFX11: v_sad_u32_e64_dpp v5, v1, v2, -1 quad_perm:[3,2,1,0] row_mask:0xf bank_mask:0xf ; encoding: [0x05,0x00,0x25,0xd6,0xfa,0x04,0x06,0x03,0x01,0x1b,0x00,0xff]

v_sad_u32_e64_dpp v5, v1, v2, 0.5 quad_perm:[3,2,1,0]
// GFX11: v_sad_u32_e64_dpp v5, v1, v2, 0.5 quad_perm:[3,2,1,0] row_mask:0xf bank_mask:0xf ; encoding: [0x05,0x00,0x25,0xd6,0xfa,0x04,0xc2,0x03,0x01,0x1b,0x00,0xff]

v_sad_u32_e64_dpp v5, v1, v2, exec_hi quad_perm:[3,2,1,0]
// GFX11: v_sad_u32_e64_dpp v5, v1, v2, exec_hi quad_perm:[3,2,1,0] row_mask:0xf bank_mask:0xf ; encoding: [0x05,0x00,0x25,0xd6,0xfa,0x04,0xfe,0x01,0x01,0x1b,0x00,0xff]

v_sad_u32_e64_dpp v5, v1, v2, exec_lo quad_perm:[3,2,1,0]
// GFX11: v_sad_u32_e64_dpp v5, v1, v2, exec_lo quad_perm:[3,2,1,0] row_mask:0xf bank_mask:0xf ; encoding: [0x05,0x00,0x25,0xd6,0xfa,0x04,0xfa,0x01,0x01,0x1b,0x00,0xff]

v_sad_u32_e64_dpp v5, v1, v2, m0 quad_perm:[3,2,1,0]
// GFX11: v_sad_u32_e64_dpp v5, v1, v2, m0 quad_perm:[3,2,1,0] row_mask:0xf bank_mask:0xf ; encoding: [0x05,0x00,0x25,0xd6,0xfa,0x04,0xf6,0x01,0x01,0x1b,0x00,0xff]

v_sad_u32_e64_dpp v5, v1, v2, null quad_perm:[3,2,1,0]
// GFX11: v_sad_u32_e64_dpp v5, v1, v2, null quad_perm:[3,2,1,0] row_mask:0xf bank_mask:0xf ; encoding: [0x05,0x00,0x25,0xd6,0xfa,0x04,0xf2,0x01,0x01,0x1b,0x00,0xff]

v_sad_u32_e64_dpp v5, v1, v2, s105 quad_perm:[3,2,1,0]
// GFX11: v_sad_u32_e64_dpp v5, v1, v2, s105 quad_perm:[3,2,1,0] row_mask:0xf bank_mask:0xf ; encoding: [0x05,0x00,0x25,0xd6,0xfa,0x04,0xa6,0x01,0x01,0x1b,0x00,0xff]

v_sad_u32_e64_dpp v5, v1, v2, s3 quad_perm:[3,2,1,0]
// GFX11: v_sad_u32_e64_dpp v5, v1, v2, s3 quad_perm:[3,2,1,0] row_mask:0xf bank_mask:0xf ; encoding: [0x05,0x00,0x25,0xd6,0xfa,0x04,0x0e,0x00,0x01,0x1b,0x00,0xff]

v_sad_u32_e64_dpp v5, v1, v2, src_scc quad_perm:[3,2,1,0]
// GFX11: v_sad_u32_e64_dpp v5, v1, v2, src_scc quad_perm:[3,2,1,0] row_mask:0xf bank_mask:0xf ; encoding: [0x05,0x00,0x25,0xd6,0xfa,0x04,0xf6,0x03,0x01,0x1b,0x00,0xff]

v_sad_u32_e64_dpp v5, v1, v2, ttmp15 quad_perm:[3,2,1,0]
// GFX11: v_sad_u32_e64_dpp v5, v1, v2, ttmp15 quad_perm:[3,2,1,0] row_mask:0xf bank_mask:0xf ; encoding: [0x05,0x00,0x25,0xd6,0xfa,0x04,0xee,0x01,0x01,0x1b,0x00,0xff]

v_sad_u32_e64_dpp v5, v1, v2, v255 quad_perm:[3,2,1,0]
// GFX11: v_sad_u32_e64_dpp v5, v1, v2, v255 quad_perm:[3,2,1,0] row_mask:0xf bank_mask:0xf ; encoding: [0x05,0x00,0x25,0xd6,0xfa,0x04,0xfe,0x07,0x01,0x1b,0x00,0xff]

v_sad_u32_e64_dpp v5, v1, v2, vcc_hi quad_perm:[3,2,1,0]
// GFX11: v_sad_u32_e64_dpp v5, v1, v2, vcc_hi quad_perm:[3,2,1,0] row_mask:0xf bank_mask:0xf ; encoding: [0x05,0x00,0x25,0xd6,0xfa,0x04,0xae,0x01,0x01,0x1b,0x00,0xff]

v_sad_u32_e64_dpp v5, v1, v2, vcc_lo quad_perm:[3,2,1,0]
// GFX11: v_sad_u32_e64_dpp v5, v1, v2, vcc_lo quad_perm:[3,2,1,0] row_mask:0xf bank_mask:0xf ; encoding: [0x05,0x00,0x25,0xd6,0xfa,0x04,0xaa,0x01,0x01,0x1b,0x00,0xff]

v_sad_u32_e64_dpp v5, v1, v2, v3 quad_perm:[3,2,1,0] bound_ctrl:0
// GFX11: v_sad_u32_e64_dpp v5, v1, v2, v3 quad_perm:[3,2,1,0] row_mask:0xf bank_mask:0xf ; encoding: [0x05,0x00,0x25,0xd6,0xfa,0x04,0x0e,0x04,0x01,0x1b,0x00,0xff]

v_sad_u32_e64_dpp v5, v1, v2, v3 quad_perm:[3,2,1,0] bound_ctrl:1
// GFX11: v_sad_u32_e64_dpp v5, v1, v2, v3 quad_perm:[3,2,1,0] row_mask:0xf bank_mask:0xf bound_ctrl:1 ; encoding: [0x05,0x00,0x25,0xd6,0xfa,0x04,0x0e,0x04,0x01,0x1b,0x08,0xff]

v_sad_u32_e64_dpp v5, v1, v2, v3 quad_perm:[0,1,2,3]
// GFX11: v_sad_u32_e64_dpp v5, v1, v2, v3 quad_perm:[0,1,2,3] row_mask:0xf bank_mask:0xf ; encoding: [0x05,0x00,0x25,0xd6,0xfa,0x04,0x0e,0x04,0x01,0xe4,0x00,0xff]

v_sad_u32_e64_dpp v5, v1, v2, v3 row_half_mirror
// GFX11: v_sad_u32_e64_dpp v5, v1, v2, v3 row_half_mirror row_mask:0xf bank_mask:0xf ; encoding: [0x05,0x00,0x25,0xd6,0xfa,0x04,0x0e,0x04,0x01,0x41,0x01,0xff]

v_sad_u32_e64_dpp v5, v1, v2, v3 row_mirror
// GFX11: v_sad_u32_e64_dpp v5, v1, v2, v3 row_mirror row_mask:0xf bank_mask:0xf ; encoding: [0x05,0x00,0x25,0xd6,0xfa,0x04,0x0e,0x04,0x01,0x40,0x01,0xff]

v_sad_u32_e64_dpp v5, v1, v2, v3 row_ror:1
// GFX11: v_sad_u32_e64_dpp v5, v1, v2, v3 row_ror:1 row_mask:0xf bank_mask:0xf ; encoding: [0x05,0x00,0x25,0xd6,0xfa,0x04,0x0e,0x04,0x01,0x21,0x01,0xff]

v_sad_u32_e64_dpp v5, v1, v2, v3 row_ror:15
// GFX11: v_sad_u32_e64_dpp v5, v1, v2, v3 row_ror:15 row_mask:0xf bank_mask:0xf ; encoding: [0x05,0x00,0x25,0xd6,0xfa,0x04,0x0e,0x04,0x01,0x2f,0x01,0xff]

v_sad_u32_e64_dpp v5, v1, v2, v3 row_share:0
// GFX11: v_sad_u32_e64_dpp v5, v1, v2, v3 row_share:0 row_mask:0xf bank_mask:0xf ; encoding: [0x05,0x00,0x25,0xd6,0xfa,0x04,0x0e,0x04,0x01,0x50,0x01,0xff]

v_sad_u32_e64_dpp v5, v1, v2, v3 row_share:15
// GFX11: v_sad_u32_e64_dpp v5, v1, v2, v3 row_share:15 row_mask:0xf bank_mask:0xf ; encoding: [0x05,0x00,0x25,0xd6,0xfa,0x04,0x0e,0x04,0x01,0x5f,0x01,0xff]

v_sad_u32_e64_dpp v5, v1, v2, v3 row_shl:1
// GFX11: v_sad_u32_e64_dpp v5, v1, v2, v3 row_shl:1 row_mask:0xf bank_mask:0xf ; encoding: [0x05,0x00,0x25,0xd6,0xfa,0x04,0x0e,0x04,0x01,0x01,0x01,0xff]

v_sad_u32_e64_dpp v5, v1, v2, v3 row_shl:15
// GFX11: v_sad_u32_e64_dpp v5, v1, v2, v3 row_shl:15 row_mask:0xf bank_mask:0xf ; encoding: [0x05,0x00,0x25,0xd6,0xfa,0x04,0x0e,0x04,0x01,0x0f,0x01,0xff]

v_sad_u32_e64_dpp v5, v1, v2, v3 row_shr:1
// GFX11: v_sad_u32_e64_dpp v5, v1, v2, v3 row_shr:1 row_mask:0xf bank_mask:0xf ; encoding: [0x05,0x00,0x25,0xd6,0xfa,0x04,0x0e,0x04,0x01,0x11,0x01,0xff]

v_sad_u32_e64_dpp v5, v1, v2, v3 row_shr:15
// GFX11: v_sad_u32_e64_dpp v5, v1, v2, v3 row_shr:15 row_mask:0xf bank_mask:0xf ; encoding: [0x05,0x00,0x25,0xd6,0xfa,0x04,0x0e,0x04,0x01,0x1f,0x01,0xff]

v_sad_u32_e64_dpp v5, v1, v2, v3 row_xmask:0
// GFX11: v_sad_u32_e64_dpp v5, v1, v2, v3 row_xmask:0 row_mask:0xf bank_mask:0xf ; encoding: [0x05,0x00,0x25,0xd6,0xfa,0x04,0x0e,0x04,0x01,0x60,0x01,0xff]

v_sad_u32_e64_dpp v5, v1, v2, v3 row_xmask:15
// GFX11: v_sad_u32_e64_dpp v5, v1, v2, v3 row_xmask:15 row_mask:0xf bank_mask:0xf ; encoding: [0x05,0x00,0x25,0xd6,0xfa,0x04,0x0e,0x04,0x01,0x6f,0x01,0xff]

v_sad_u32_e64_dpp v5, v1, v2, v3 quad_perm:[3,2,1,0] fi:0
// GFX11: v_sad_u32_e64_dpp v5, v1, v2, v3 quad_perm:[3,2,1,0] row_mask:0xf bank_mask:0xf ; encoding: [0x05,0x00,0x25,0xd6,0xfa,0x04,0x0e,0x04,0x01,0x1b,0x00,0xff]

v_sad_u32_e64_dpp v5, v1, v2, v3 quad_perm:[3,2,1,0] fi:1
// GFX11: v_sad_u32_e64_dpp v5, v1, v2, v3 quad_perm:[3,2,1,0] row_mask:0xf bank_mask:0xf fi:1 ; encoding: [0x05,0x00,0x25,0xd6,0xfa,0x04,0x0e,0x04,0x01,0x1b,0x04,0xff]

v_sad_u32_e64_dpp v5, v1, v2, v3 quad_perm:[3,2,1,0] row_mask:0x0 bank_mask:0x1
// GFX11: v_sad_u32_e64_dpp v5, v1, v2, v3 quad_perm:[3,2,1,0] row_mask:0x0 bank_mask:0x1 ; encoding: [0x05,0x00,0x25,0xd6,0xfa,0x04,0x0e,0x04,0x01,0x1b,0x00,0x01]

v_sad_u32_e64_dpp v5, v1, v2, v3 quad_perm:[3,2,1,0] row_mask:0x3 bank_mask:0x0
// GFX11: v_sad_u32_e64_dpp v5, v1, v2, v3 quad_perm:[3,2,1,0] row_mask:0x3 bank_mask:0x0 ; encoding: [0x05,0x00,0x25,0xd6,0xfa,0x04,0x0e,0x04,0x01,0x1b,0x00,0x30]
	;; [unrolled: 3-line block ×3, first 2 shown]

v_sad_u32_e64_dpp v5, v1, v2, v3 clamp quad_perm:[3,2,1,0]
// GFX11: v_sad_u32_e64_dpp v5, v1, v2, v3 clamp quad_perm:[3,2,1,0] row_mask:0xf bank_mask:0xf ; encoding: [0x05,0x80,0x25,0xd6,0xfa,0x04,0x0e,0x04,0x01,0x1b,0x00,0xff]

v_sad_u8_e64_dpp v5, v1, v2, v3 quad_perm:[3,2,1,0]
// GFX11: v_sad_u8_e64_dpp v5, v1, v2, v3 quad_perm:[3,2,1,0] row_mask:0xf bank_mask:0xf ; encoding: [0x05,0x00,0x22,0xd6,0xfa,0x04,0x0e,0x04,0x01,0x1b,0x00,0xff]

v_sad_u8_e64_dpp v255, v255, v255, v255 quad_perm:[3,2,1,0]
// GFX11: v_sad_u8_e64_dpp v255, v255, v255, v255 quad_perm:[3,2,1,0] row_mask:0xf bank_mask:0xf ; encoding: [0xff,0x00,0x22,0xd6,0xfa,0xfe,0xff,0x07,0xff,0x1b,0x00,0xff]

v_sad_u8_e64_dpp v5, v1, v2, -1 quad_perm:[3,2,1,0]
// GFX11: v_sad_u8_e64_dpp v5, v1, v2, -1 quad_perm:[3,2,1,0] row_mask:0xf bank_mask:0xf ; encoding: [0x05,0x00,0x22,0xd6,0xfa,0x04,0x06,0x03,0x01,0x1b,0x00,0xff]

v_sad_u8_e64_dpp v5, v1, v2, 0.5 quad_perm:[3,2,1,0]
// GFX11: v_sad_u8_e64_dpp v5, v1, v2, 0.5 quad_perm:[3,2,1,0] row_mask:0xf bank_mask:0xf ; encoding: [0x05,0x00,0x22,0xd6,0xfa,0x04,0xc2,0x03,0x01,0x1b,0x00,0xff]

v_sad_u8_e64_dpp v5, v1, v2, exec_hi quad_perm:[3,2,1,0]
// GFX11: v_sad_u8_e64_dpp v5, v1, v2, exec_hi quad_perm:[3,2,1,0] row_mask:0xf bank_mask:0xf ; encoding: [0x05,0x00,0x22,0xd6,0xfa,0x04,0xfe,0x01,0x01,0x1b,0x00,0xff]

v_sad_u8_e64_dpp v5, v1, v2, exec_lo quad_perm:[3,2,1,0]
// GFX11: v_sad_u8_e64_dpp v5, v1, v2, exec_lo quad_perm:[3,2,1,0] row_mask:0xf bank_mask:0xf ; encoding: [0x05,0x00,0x22,0xd6,0xfa,0x04,0xfa,0x01,0x01,0x1b,0x00,0xff]

v_sad_u8_e64_dpp v5, v1, v2, m0 quad_perm:[3,2,1,0]
// GFX11: v_sad_u8_e64_dpp v5, v1, v2, m0 quad_perm:[3,2,1,0] row_mask:0xf bank_mask:0xf ; encoding: [0x05,0x00,0x22,0xd6,0xfa,0x04,0xf6,0x01,0x01,0x1b,0x00,0xff]

v_sad_u8_e64_dpp v5, v1, v2, null quad_perm:[3,2,1,0]
// GFX11: v_sad_u8_e64_dpp v5, v1, v2, null quad_perm:[3,2,1,0] row_mask:0xf bank_mask:0xf ; encoding: [0x05,0x00,0x22,0xd6,0xfa,0x04,0xf2,0x01,0x01,0x1b,0x00,0xff]

v_sad_u8_e64_dpp v5, v1, v2, s105 quad_perm:[3,2,1,0]
// GFX11: v_sad_u8_e64_dpp v5, v1, v2, s105 quad_perm:[3,2,1,0] row_mask:0xf bank_mask:0xf ; encoding: [0x05,0x00,0x22,0xd6,0xfa,0x04,0xa6,0x01,0x01,0x1b,0x00,0xff]

v_sad_u8_e64_dpp v5, v1, v2, s3 quad_perm:[3,2,1,0]
// GFX11: v_sad_u8_e64_dpp v5, v1, v2, s3 quad_perm:[3,2,1,0] row_mask:0xf bank_mask:0xf ; encoding: [0x05,0x00,0x22,0xd6,0xfa,0x04,0x0e,0x00,0x01,0x1b,0x00,0xff]

v_sad_u8_e64_dpp v5, v1, v2, src_scc quad_perm:[3,2,1,0]
// GFX11: v_sad_u8_e64_dpp v5, v1, v2, src_scc quad_perm:[3,2,1,0] row_mask:0xf bank_mask:0xf ; encoding: [0x05,0x00,0x22,0xd6,0xfa,0x04,0xf6,0x03,0x01,0x1b,0x00,0xff]

v_sad_u8_e64_dpp v5, v1, v2, ttmp15 quad_perm:[3,2,1,0]
// GFX11: v_sad_u8_e64_dpp v5, v1, v2, ttmp15 quad_perm:[3,2,1,0] row_mask:0xf bank_mask:0xf ; encoding: [0x05,0x00,0x22,0xd6,0xfa,0x04,0xee,0x01,0x01,0x1b,0x00,0xff]

v_sad_u8_e64_dpp v5, v1, v2, v255 quad_perm:[3,2,1,0]
// GFX11: v_sad_u8_e64_dpp v5, v1, v2, v255 quad_perm:[3,2,1,0] row_mask:0xf bank_mask:0xf ; encoding: [0x05,0x00,0x22,0xd6,0xfa,0x04,0xfe,0x07,0x01,0x1b,0x00,0xff]

v_sad_u8_e64_dpp v5, v1, v2, vcc_hi quad_perm:[3,2,1,0]
// GFX11: v_sad_u8_e64_dpp v5, v1, v2, vcc_hi quad_perm:[3,2,1,0] row_mask:0xf bank_mask:0xf ; encoding: [0x05,0x00,0x22,0xd6,0xfa,0x04,0xae,0x01,0x01,0x1b,0x00,0xff]

v_sad_u8_e64_dpp v5, v1, v2, vcc_lo quad_perm:[3,2,1,0]
// GFX11: v_sad_u8_e64_dpp v5, v1, v2, vcc_lo quad_perm:[3,2,1,0] row_mask:0xf bank_mask:0xf ; encoding: [0x05,0x00,0x22,0xd6,0xfa,0x04,0xaa,0x01,0x01,0x1b,0x00,0xff]

v_sad_u8_e64_dpp v5, v1, v2, v3 quad_perm:[3,2,1,0] bound_ctrl:0
// GFX11: v_sad_u8_e64_dpp v5, v1, v2, v3 quad_perm:[3,2,1,0] row_mask:0xf bank_mask:0xf ; encoding: [0x05,0x00,0x22,0xd6,0xfa,0x04,0x0e,0x04,0x01,0x1b,0x00,0xff]

v_sad_u8_e64_dpp v5, v1, v2, v3 quad_perm:[3,2,1,0] bound_ctrl:1
// GFX11: v_sad_u8_e64_dpp v5, v1, v2, v3 quad_perm:[3,2,1,0] row_mask:0xf bank_mask:0xf bound_ctrl:1 ; encoding: [0x05,0x00,0x22,0xd6,0xfa,0x04,0x0e,0x04,0x01,0x1b,0x08,0xff]

v_sad_u8_e64_dpp v5, v1, v2, v3 quad_perm:[0,1,2,3]
// GFX11: v_sad_u8_e64_dpp v5, v1, v2, v3 quad_perm:[0,1,2,3] row_mask:0xf bank_mask:0xf ; encoding: [0x05,0x00,0x22,0xd6,0xfa,0x04,0x0e,0x04,0x01,0xe4,0x00,0xff]

v_sad_u8_e64_dpp v5, v1, v2, v3 row_half_mirror
// GFX11: v_sad_u8_e64_dpp v5, v1, v2, v3 row_half_mirror row_mask:0xf bank_mask:0xf ; encoding: [0x05,0x00,0x22,0xd6,0xfa,0x04,0x0e,0x04,0x01,0x41,0x01,0xff]

v_sad_u8_e64_dpp v5, v1, v2, v3 row_mirror
// GFX11: v_sad_u8_e64_dpp v5, v1, v2, v3 row_mirror row_mask:0xf bank_mask:0xf ; encoding: [0x05,0x00,0x22,0xd6,0xfa,0x04,0x0e,0x04,0x01,0x40,0x01,0xff]

v_sad_u8_e64_dpp v5, v1, v2, v3 row_ror:1
// GFX11: v_sad_u8_e64_dpp v5, v1, v2, v3 row_ror:1 row_mask:0xf bank_mask:0xf ; encoding: [0x05,0x00,0x22,0xd6,0xfa,0x04,0x0e,0x04,0x01,0x21,0x01,0xff]

v_sad_u8_e64_dpp v5, v1, v2, v3 row_ror:15
// GFX11: v_sad_u8_e64_dpp v5, v1, v2, v3 row_ror:15 row_mask:0xf bank_mask:0xf ; encoding: [0x05,0x00,0x22,0xd6,0xfa,0x04,0x0e,0x04,0x01,0x2f,0x01,0xff]

v_sad_u8_e64_dpp v5, v1, v2, v3 row_share:0
// GFX11: v_sad_u8_e64_dpp v5, v1, v2, v3 row_share:0 row_mask:0xf bank_mask:0xf ; encoding: [0x05,0x00,0x22,0xd6,0xfa,0x04,0x0e,0x04,0x01,0x50,0x01,0xff]

v_sad_u8_e64_dpp v5, v1, v2, v3 row_share:15
// GFX11: v_sad_u8_e64_dpp v5, v1, v2, v3 row_share:15 row_mask:0xf bank_mask:0xf ; encoding: [0x05,0x00,0x22,0xd6,0xfa,0x04,0x0e,0x04,0x01,0x5f,0x01,0xff]

v_sad_u8_e64_dpp v5, v1, v2, v3 row_shl:1
// GFX11: v_sad_u8_e64_dpp v5, v1, v2, v3 row_shl:1 row_mask:0xf bank_mask:0xf ; encoding: [0x05,0x00,0x22,0xd6,0xfa,0x04,0x0e,0x04,0x01,0x01,0x01,0xff]

v_sad_u8_e64_dpp v5, v1, v2, v3 row_shl:15
// GFX11: v_sad_u8_e64_dpp v5, v1, v2, v3 row_shl:15 row_mask:0xf bank_mask:0xf ; encoding: [0x05,0x00,0x22,0xd6,0xfa,0x04,0x0e,0x04,0x01,0x0f,0x01,0xff]

v_sad_u8_e64_dpp v5, v1, v2, v3 row_shr:1
// GFX11: v_sad_u8_e64_dpp v5, v1, v2, v3 row_shr:1 row_mask:0xf bank_mask:0xf ; encoding: [0x05,0x00,0x22,0xd6,0xfa,0x04,0x0e,0x04,0x01,0x11,0x01,0xff]

v_sad_u8_e64_dpp v5, v1, v2, v3 row_shr:15
// GFX11: v_sad_u8_e64_dpp v5, v1, v2, v3 row_shr:15 row_mask:0xf bank_mask:0xf ; encoding: [0x05,0x00,0x22,0xd6,0xfa,0x04,0x0e,0x04,0x01,0x1f,0x01,0xff]

v_sad_u8_e64_dpp v5, v1, v2, v3 row_xmask:0
// GFX11: v_sad_u8_e64_dpp v5, v1, v2, v3 row_xmask:0 row_mask:0xf bank_mask:0xf ; encoding: [0x05,0x00,0x22,0xd6,0xfa,0x04,0x0e,0x04,0x01,0x60,0x01,0xff]

v_sad_u8_e64_dpp v5, v1, v2, v3 row_xmask:15
// GFX11: v_sad_u8_e64_dpp v5, v1, v2, v3 row_xmask:15 row_mask:0xf bank_mask:0xf ; encoding: [0x05,0x00,0x22,0xd6,0xfa,0x04,0x0e,0x04,0x01,0x6f,0x01,0xff]

v_sad_u8_e64_dpp v5, v1, v2, v3 quad_perm:[3,2,1,0] fi:0
// GFX11: v_sad_u8_e64_dpp v5, v1, v2, v3 quad_perm:[3,2,1,0] row_mask:0xf bank_mask:0xf ; encoding: [0x05,0x00,0x22,0xd6,0xfa,0x04,0x0e,0x04,0x01,0x1b,0x00,0xff]

v_sad_u8_e64_dpp v5, v1, v2, v3 quad_perm:[3,2,1,0] fi:1
// GFX11: v_sad_u8_e64_dpp v5, v1, v2, v3 quad_perm:[3,2,1,0] row_mask:0xf bank_mask:0xf fi:1 ; encoding: [0x05,0x00,0x22,0xd6,0xfa,0x04,0x0e,0x04,0x01,0x1b,0x04,0xff]

v_sad_u8_e64_dpp v5, v1, v2, v3 quad_perm:[3,2,1,0] row_mask:0x0 bank_mask:0x1
// GFX11: v_sad_u8_e64_dpp v5, v1, v2, v3 quad_perm:[3,2,1,0] row_mask:0x0 bank_mask:0x1 ; encoding: [0x05,0x00,0x22,0xd6,0xfa,0x04,0x0e,0x04,0x01,0x1b,0x00,0x01]

v_sad_u8_e64_dpp v5, v1, v2, v3 quad_perm:[3,2,1,0] row_mask:0x3 bank_mask:0x0
// GFX11: v_sad_u8_e64_dpp v5, v1, v2, v3 quad_perm:[3,2,1,0] row_mask:0x3 bank_mask:0x0 ; encoding: [0x05,0x00,0x22,0xd6,0xfa,0x04,0x0e,0x04,0x01,0x1b,0x00,0x30]
	;; [unrolled: 3-line block ×3, first 2 shown]

v_sad_u8_e64_dpp v5, v1, v2, v3 clamp quad_perm:[3,2,1,0]
// GFX11: v_sad_u8_e64_dpp v5, v1, v2, v3 clamp quad_perm:[3,2,1,0] row_mask:0xf bank_mask:0xf ; encoding: [0x05,0x80,0x22,0xd6,0xfa,0x04,0x0e,0x04,0x01,0x1b,0x00,0xff]

v_sub_co_u32_e64_dpp v5, s6, v1, v2 quad_perm:[3,2,1,0]
// W32: v_sub_co_u32_e64_dpp v5, s6, v1, v2 quad_perm:[3,2,1,0] row_mask:0xf bank_mask:0xf ; encoding: [0x05,0x06,0x01,0xd7,0xfa,0x04,0x02,0x00,0x01,0x1b,0x00,0xff]
// W64-ERR: :[[@LINE-2]]:26: error: invalid operand for instruction

v_sub_co_u32_e64_dpp v255, null, v255, v255 quad_perm:[3,2,1,0]
// GFX11: v_sub_co_u32_e64_dpp v255, null, v255, v255 quad_perm:[3,2,1,0] row_mask:0xf bank_mask:0xf ; encoding: [0xff,0x7c,0x01,0xd7,0xfa,0xfe,0x03,0x00,0xff,0x1b,0x00,0xff]

v_sub_co_u32_e64_dpp v5, s105, v1, v2 quad_perm:[3,2,1,0]
// W32: v_sub_co_u32_e64_dpp v5, s105, v1, v2 quad_perm:[3,2,1,0] row_mask:0xf bank_mask:0xf ; encoding: [0x05,0x69,0x01,0xd7,0xfa,0x04,0x02,0x00,0x01,0x1b,0x00,0xff]
// W64-ERR: :[[@LINE-2]]:26: error: invalid operand for instruction

v_sub_co_u32_e64_dpp v5, s[12:13], v1, v2 quad_perm:[3,2,1,0]
// W32-ERR: :[[@LINE-1]]:26: error: invalid operand for instruction
// W64: v_sub_co_u32_e64_dpp v5, s[12:13], v1, v2 quad_perm:[3,2,1,0] row_mask:0xf bank_mask:0xf ; encoding: [0x05,0x0c,0x01,0xd7,0xfa,0x04,0x02,0x00,0x01,0x1b,0x00,0xff]

v_sub_co_u32_e64_dpp v5, s[104:105], v1, v2 quad_perm:[3,2,1,0]
// W32-ERR: :[[@LINE-1]]:26: error: invalid operand for instruction
// W64: v_sub_co_u32_e64_dpp v5, s[104:105], v1, v2 quad_perm:[3,2,1,0] row_mask:0xf bank_mask:0xf ; encoding: [0x05,0x68,0x01,0xd7,0xfa,0x04,0x02,0x00,0x01,0x1b,0x00,0xff]

v_sub_co_u32_e64_dpp v5, vcc_lo, v1, v2 quad_perm:[3,2,1,0]
// W32: v_sub_co_u32_e64_dpp v5, vcc_lo, v1, v2 quad_perm:[3,2,1,0] row_mask:0xf bank_mask:0xf ; encoding: [0x05,0x6a,0x01,0xd7,0xfa,0x04,0x02,0x00,0x01,0x1b,0x00,0xff]
// W64-ERR: :[[@LINE-2]]:26: error: invalid operand for instruction

v_sub_co_u32_e64_dpp v5, vcc_hi, v1, v2 quad_perm:[3,2,1,0]
// W32: v_sub_co_u32_e64_dpp v5, vcc_hi, v1, v2 quad_perm:[3,2,1,0] row_mask:0xf bank_mask:0xf ; encoding: [0x05,0x6b,0x01,0xd7,0xfa,0x04,0x02,0x00,0x01,0x1b,0x00,0xff]
// W64-ERR: :[[@LINE-2]]:26: error: invalid operand for instruction

v_sub_co_u32_e64_dpp v5, vcc, v1, v2 quad_perm:[3,2,1,0]
// W32-ERR: :[[@LINE-1]]:26: error: invalid operand for instruction
// W64: v_sub_co_u32_e64_dpp v5, vcc, v1, v2 quad_perm:[3,2,1,0] row_mask:0xf bank_mask:0xf ; encoding: [0x05,0x6a,0x01,0xd7,0xfa,0x04,0x02,0x00,0x01,0x1b,0x00,0xff]

v_sub_co_u32_e64_dpp v5, ttmp15, v1, v2 quad_perm:[3,2,1,0]
// W32: v_sub_co_u32_e64_dpp v5, ttmp15, v1, v2 quad_perm:[3,2,1,0] row_mask:0xf bank_mask:0xf ; encoding: [0x05,0x7b,0x01,0xd7,0xfa,0x04,0x02,0x00,0x01,0x1b,0x00,0xff]
// W64-ERR: :[[@LINE-2]]:26: error: invalid operand for instruction

v_sub_co_u32_e64_dpp v5, ttmp[14:15], v1, v2 quad_perm:[3,2,1,0]
// W32-ERR: :[[@LINE-1]]:26: error: invalid operand for instruction
// W64: v_sub_co_u32_e64_dpp v5, ttmp[14:15], v1, v2 quad_perm:[3,2,1,0] row_mask:0xf bank_mask:0xf ; encoding: [0x05,0x7a,0x01,0xd7,0xfa,0x04,0x02,0x00,0x01,0x1b,0x00,0xff]

v_sub_co_u32_e64_dpp v5, null, v1, v2 quad_perm:[3,2,1,0]
// GFX11: v_sub_co_u32_e64_dpp v5, null, v1, v2 quad_perm:[3,2,1,0] row_mask:0xf bank_mask:0xf ; encoding: [0x05,0x7c,0x01,0xd7,0xfa,0x04,0x02,0x00,0x01,0x1b,0x00,0xff]

v_sub_co_u32_e64_dpp v5, s6, v1, v2 quad_perm:[3,2,1,0] bound_ctrl:0
// W32: v_sub_co_u32_e64_dpp v5, s6, v1, v2 quad_perm:[3,2,1,0] row_mask:0xf bank_mask:0xf ; encoding: [0x05,0x06,0x01,0xd7,0xfa,0x04,0x02,0x00,0x01,0x1b,0x00,0xff]
// W64-ERR: :[[@LINE-2]]:26: error: invalid operand for instruction

v_sub_co_u32_e64_dpp v5, s6, v1, v2 quad_perm:[3,2,1,0] bound_ctrl:1
// W32: v_sub_co_u32_e64_dpp v5, s6, v1, v2 quad_perm:[3,2,1,0] row_mask:0xf bank_mask:0xf bound_ctrl:1 ; encoding: [0x05,0x06,0x01,0xd7,0xfa,0x04,0x02,0x00,0x01,0x1b,0x08,0xff]
// W64-ERR: :[[@LINE-2]]:26: error: invalid operand for instruction

v_sub_co_u32_e64_dpp v5, s6, v1, v2 quad_perm:[0,1,2,3]
// W32: v_sub_co_u32_e64_dpp v5, s6, v1, v2 quad_perm:[0,1,2,3] row_mask:0xf bank_mask:0xf ; encoding: [0x05,0x06,0x01,0xd7,0xfa,0x04,0x02,0x00,0x01,0xe4,0x00,0xff]
// W64-ERR: :[[@LINE-2]]:26: error: invalid operand for instruction

v_sub_co_u32_e64_dpp v5, s6, v1, v2 row_half_mirror
// W32: v_sub_co_u32_e64_dpp v5, s6, v1, v2 row_half_mirror row_mask:0xf bank_mask:0xf ; encoding: [0x05,0x06,0x01,0xd7,0xfa,0x04,0x02,0x00,0x01,0x41,0x01,0xff]
// W64-ERR: :[[@LINE-2]]:26: error: invalid operand for instruction

v_sub_co_u32_e64_dpp v5, s6, v1, v2 row_mirror
// W32: v_sub_co_u32_e64_dpp v5, s6, v1, v2 row_mirror row_mask:0xf bank_mask:0xf ; encoding: [0x05,0x06,0x01,0xd7,0xfa,0x04,0x02,0x00,0x01,0x40,0x01,0xff]
// W64-ERR: :[[@LINE-2]]:26: error: invalid operand for instruction

v_sub_co_u32_e64_dpp v5, s6, v1, v2 row_ror:1
// W32: v_sub_co_u32_e64_dpp v5, s6, v1, v2 row_ror:1 row_mask:0xf bank_mask:0xf ; encoding: [0x05,0x06,0x01,0xd7,0xfa,0x04,0x02,0x00,0x01,0x21,0x01,0xff]
// W64-ERR: :[[@LINE-2]]:26: error: invalid operand for instruction

v_sub_co_u32_e64_dpp v5, s6, v1, v2 row_ror:15
// W32: v_sub_co_u32_e64_dpp v5, s6, v1, v2 row_ror:15 row_mask:0xf bank_mask:0xf ; encoding: [0x05,0x06,0x01,0xd7,0xfa,0x04,0x02,0x00,0x01,0x2f,0x01,0xff]
// W64-ERR: :[[@LINE-2]]:26: error: invalid operand for instruction

v_sub_co_u32_e64_dpp v5, s6, v1, v2 row_share:0
// W32: v_sub_co_u32_e64_dpp v5, s6, v1, v2 row_share:0 row_mask:0xf bank_mask:0xf ; encoding: [0x05,0x06,0x01,0xd7,0xfa,0x04,0x02,0x00,0x01,0x50,0x01,0xff]
// W64-ERR: :[[@LINE-2]]:26: error: invalid operand for instruction

v_sub_co_u32_e64_dpp v5, s6, v1, v2 row_share:15
// W32: v_sub_co_u32_e64_dpp v5, s6, v1, v2 row_share:15 row_mask:0xf bank_mask:0xf ; encoding: [0x05,0x06,0x01,0xd7,0xfa,0x04,0x02,0x00,0x01,0x5f,0x01,0xff]
// W64-ERR: :[[@LINE-2]]:26: error: invalid operand for instruction

v_sub_co_u32_e64_dpp v5, s6, v1, v2 row_shl:1
// W32: v_sub_co_u32_e64_dpp v5, s6, v1, v2 row_shl:1 row_mask:0xf bank_mask:0xf ; encoding: [0x05,0x06,0x01,0xd7,0xfa,0x04,0x02,0x00,0x01,0x01,0x01,0xff]
// W64-ERR: :[[@LINE-2]]:26: error: invalid operand for instruction

v_sub_co_u32_e64_dpp v5, s6, v1, v2 row_shl:15
// W32: v_sub_co_u32_e64_dpp v5, s6, v1, v2 row_shl:15 row_mask:0xf bank_mask:0xf ; encoding: [0x05,0x06,0x01,0xd7,0xfa,0x04,0x02,0x00,0x01,0x0f,0x01,0xff]
// W64-ERR: :[[@LINE-2]]:26: error: invalid operand for instruction

v_sub_co_u32_e64_dpp v5, s6, v1, v2 row_shr:1
// W32: v_sub_co_u32_e64_dpp v5, s6, v1, v2 row_shr:1 row_mask:0xf bank_mask:0xf ; encoding: [0x05,0x06,0x01,0xd7,0xfa,0x04,0x02,0x00,0x01,0x11,0x01,0xff]
// W64-ERR: :[[@LINE-2]]:26: error: invalid operand for instruction

v_sub_co_u32_e64_dpp v5, s6, v1, v2 row_shr:15
// W32: v_sub_co_u32_e64_dpp v5, s6, v1, v2 row_shr:15 row_mask:0xf bank_mask:0xf ; encoding: [0x05,0x06,0x01,0xd7,0xfa,0x04,0x02,0x00,0x01,0x1f,0x01,0xff]
// W64-ERR: :[[@LINE-2]]:26: error: invalid operand for instruction

v_sub_co_u32_e64_dpp v5, s6, v1, v2 row_xmask:0
// W32: v_sub_co_u32_e64_dpp v5, s6, v1, v2 row_xmask:0 row_mask:0xf bank_mask:0xf ; encoding: [0x05,0x06,0x01,0xd7,0xfa,0x04,0x02,0x00,0x01,0x60,0x01,0xff]
// W64-ERR: :[[@LINE-2]]:26: error: invalid operand for instruction

v_sub_co_u32_e64_dpp v5, s6, v1, v2 row_xmask:15
// W32: v_sub_co_u32_e64_dpp v5, s6, v1, v2 row_xmask:15 row_mask:0xf bank_mask:0xf ; encoding: [0x05,0x06,0x01,0xd7,0xfa,0x04,0x02,0x00,0x01,0x6f,0x01,0xff]
// W64-ERR: :[[@LINE-2]]:26: error: invalid operand for instruction

v_sub_co_u32_e64_dpp v5, s6, v1, v2 quad_perm:[3,2,1,0] fi:0
// W32: v_sub_co_u32_e64_dpp v5, s6, v1, v2 quad_perm:[3,2,1,0] row_mask:0xf bank_mask:0xf ; encoding: [0x05,0x06,0x01,0xd7,0xfa,0x04,0x02,0x00,0x01,0x1b,0x00,0xff]
// W64-ERR: :[[@LINE-2]]:26: error: invalid operand for instruction

v_sub_co_u32_e64_dpp v5, s6, v1, v2 quad_perm:[3,2,1,0] fi:1
// W32: v_sub_co_u32_e64_dpp v5, s6, v1, v2 quad_perm:[3,2,1,0] row_mask:0xf bank_mask:0xf fi:1 ; encoding: [0x05,0x06,0x01,0xd7,0xfa,0x04,0x02,0x00,0x01,0x1b,0x04,0xff]
// W64-ERR: :[[@LINE-2]]:26: error: invalid operand for instruction

v_sub_co_u32_e64_dpp v5, s6, v1, v2 quad_perm:[3,2,1,0] row_mask:0x0 bank_mask:0x1
// W32: v_sub_co_u32_e64_dpp v5, s6, v1, v2 quad_perm:[3,2,1,0] row_mask:0x0 bank_mask:0x1 ; encoding: [0x05,0x06,0x01,0xd7,0xfa,0x04,0x02,0x00,0x01,0x1b,0x00,0x01]
// W64-ERR: :[[@LINE-2]]:26: error: invalid operand for instruction

v_sub_co_u32_e64_dpp v5, s6, v1, v2 quad_perm:[3,2,1,0] row_mask:0x3 bank_mask:0x0
// W32: v_sub_co_u32_e64_dpp v5, s6, v1, v2 quad_perm:[3,2,1,0] row_mask:0x3 bank_mask:0x0 ; encoding: [0x05,0x06,0x01,0xd7,0xfa,0x04,0x02,0x00,0x01,0x1b,0x00,0x30]
	;; [unrolled: 4-line block ×3, first 2 shown]
// W64-ERR: :[[@LINE-2]]:26: error: invalid operand for instruction

v_sub_co_u32_e64_dpp v5, s6, v1, v2 clamp quad_perm:[3,2,1,0]
// W32: v_sub_co_u32_e64_dpp v5, s6, v1, v2 clamp quad_perm:[3,2,1,0] row_mask:0xf bank_mask:0xf ; encoding: [0x05,0x86,0x01,0xd7,0xfa,0x04,0x02,0x00,0x01,0x1b,0x00,0xff]
// W64-ERR: :[[@LINE-2]]:26: error: invalid operand for instruction

v_sub_nc_i16_e64_dpp v5.l, v1.l, v2.l quad_perm:[3,2,1,0]
// GFX11: v_sub_nc_i16_e64_dpp v5.l, v1.l, v2.l quad_perm:[3,2,1,0] row_mask:0xf bank_mask:0xf ; encoding: [0x05,0x00,0x0e,0xd7,0xfa,0x04,0x02,0x00,0x01,0x1b,0x00,0xff]

v_sub_nc_i16_e64_dpp v255.l, v255.l, v255.l quad_perm:[3,2,1,0]
// GFX11: v_sub_nc_i16_e64_dpp v255.l, v255.l, v255.l quad_perm:[3,2,1,0] row_mask:0xf bank_mask:0xf ; encoding: [0xff,0x00,0x0e,0xd7,0xfa,0xfe,0x03,0x00,0xff,0x1b,0x00,0xff]

v_sub_nc_i16_e64_dpp v5.l, v1.h, v2.l op_sel:[1,0,0] quad_perm:[3,2,1,0]
// GFX11: v_sub_nc_i16_e64_dpp v5.l, v1.h, v2.l op_sel:[1,0,0] quad_perm:[3,2,1,0] row_mask:0xf bank_mask:0xf ; encoding: [0x05,0x08,0x0e,0xd7,0xfa,0x04,0x02,0x00,0x01,0x1b,0x00,0xff]

v_sub_nc_i16_e64_dpp v5.l, v1.l, v2.h op_sel:[0,1,0] quad_perm:[3,2,1,0]
// GFX11: v_sub_nc_i16_e64_dpp v5.l, v1.l, v2.h op_sel:[0,1,0] quad_perm:[3,2,1,0] row_mask:0xf bank_mask:0xf ; encoding: [0x05,0x10,0x0e,0xd7,0xfa,0x04,0x02,0x00,0x01,0x1b,0x00,0xff]

v_sub_nc_i16_e64_dpp v5.l, v1.l, v2.l quad_perm:[3,2,1,0] bound_ctrl:0
// GFX11: v_sub_nc_i16_e64_dpp v5.l, v1.l, v2.l quad_perm:[3,2,1,0] row_mask:0xf bank_mask:0xf ; encoding: [0x05,0x00,0x0e,0xd7,0xfa,0x04,0x02,0x00,0x01,0x1b,0x00,0xff]

v_sub_nc_i16_e64_dpp v5.l, v1.l, v2.l quad_perm:[3,2,1,0] bound_ctrl:1
// GFX11: v_sub_nc_i16_e64_dpp v5.l, v1.l, v2.l quad_perm:[3,2,1,0] row_mask:0xf bank_mask:0xf bound_ctrl:1 ; encoding: [0x05,0x00,0x0e,0xd7,0xfa,0x04,0x02,0x00,0x01,0x1b,0x08,0xff]

v_sub_nc_i16_e64_dpp v5.l, v1.l, v2.l quad_perm:[0,1,2,3]
// GFX11: v_sub_nc_i16_e64_dpp v5.l, v1.l, v2.l quad_perm:[0,1,2,3] row_mask:0xf bank_mask:0xf ; encoding: [0x05,0x00,0x0e,0xd7,0xfa,0x04,0x02,0x00,0x01,0xe4,0x00,0xff]

v_sub_nc_i16_e64_dpp v5.l, v1.l, v2.l row_half_mirror
// GFX11: v_sub_nc_i16_e64_dpp v5.l, v1.l, v2.l row_half_mirror row_mask:0xf bank_mask:0xf ; encoding: [0x05,0x00,0x0e,0xd7,0xfa,0x04,0x02,0x00,0x01,0x41,0x01,0xff]

v_sub_nc_i16_e64_dpp v5.l, v1.l, v2.l row_mirror
// GFX11: v_sub_nc_i16_e64_dpp v5.l, v1.l, v2.l row_mirror row_mask:0xf bank_mask:0xf ; encoding: [0x05,0x00,0x0e,0xd7,0xfa,0x04,0x02,0x00,0x01,0x40,0x01,0xff]

v_sub_nc_i16_e64_dpp v5.l, v1.l, v2.l row_ror:1
// GFX11: v_sub_nc_i16_e64_dpp v5.l, v1.l, v2.l row_ror:1 row_mask:0xf bank_mask:0xf ; encoding: [0x05,0x00,0x0e,0xd7,0xfa,0x04,0x02,0x00,0x01,0x21,0x01,0xff]

v_sub_nc_i16_e64_dpp v5.l, v1.l, v2.l row_ror:15
// GFX11: v_sub_nc_i16_e64_dpp v5.l, v1.l, v2.l row_ror:15 row_mask:0xf bank_mask:0xf ; encoding: [0x05,0x00,0x0e,0xd7,0xfa,0x04,0x02,0x00,0x01,0x2f,0x01,0xff]

v_sub_nc_i16_e64_dpp v5.l, v1.l, v2.l row_share:0
// GFX11: v_sub_nc_i16_e64_dpp v5.l, v1.l, v2.l row_share:0 row_mask:0xf bank_mask:0xf ; encoding: [0x05,0x00,0x0e,0xd7,0xfa,0x04,0x02,0x00,0x01,0x50,0x01,0xff]

v_sub_nc_i16_e64_dpp v5.l, v1.l, v2.l row_share:15
// GFX11: v_sub_nc_i16_e64_dpp v5.l, v1.l, v2.l row_share:15 row_mask:0xf bank_mask:0xf ; encoding: [0x05,0x00,0x0e,0xd7,0xfa,0x04,0x02,0x00,0x01,0x5f,0x01,0xff]

v_sub_nc_i16_e64_dpp v5.l, v1.l, v2.l row_shl:1
// GFX11: v_sub_nc_i16_e64_dpp v5.l, v1.l, v2.l row_shl:1 row_mask:0xf bank_mask:0xf ; encoding: [0x05,0x00,0x0e,0xd7,0xfa,0x04,0x02,0x00,0x01,0x01,0x01,0xff]

v_sub_nc_i16_e64_dpp v5.l, v1.l, v2.l row_shl:15
// GFX11: v_sub_nc_i16_e64_dpp v5.l, v1.l, v2.l row_shl:15 row_mask:0xf bank_mask:0xf ; encoding: [0x05,0x00,0x0e,0xd7,0xfa,0x04,0x02,0x00,0x01,0x0f,0x01,0xff]

v_sub_nc_i16_e64_dpp v5.l, v1.l, v2.l row_shr:1
// GFX11: v_sub_nc_i16_e64_dpp v5.l, v1.l, v2.l row_shr:1 row_mask:0xf bank_mask:0xf ; encoding: [0x05,0x00,0x0e,0xd7,0xfa,0x04,0x02,0x00,0x01,0x11,0x01,0xff]

v_sub_nc_i16_e64_dpp v5.l, v1.l, v2.l row_shr:15
// GFX11: v_sub_nc_i16_e64_dpp v5.l, v1.l, v2.l row_shr:15 row_mask:0xf bank_mask:0xf ; encoding: [0x05,0x00,0x0e,0xd7,0xfa,0x04,0x02,0x00,0x01,0x1f,0x01,0xff]

v_sub_nc_i16_e64_dpp v5.l, v1.l, v2.l row_xmask:0
// GFX11: v_sub_nc_i16_e64_dpp v5.l, v1.l, v2.l row_xmask:0 row_mask:0xf bank_mask:0xf ; encoding: [0x05,0x00,0x0e,0xd7,0xfa,0x04,0x02,0x00,0x01,0x60,0x01,0xff]

v_sub_nc_i16_e64_dpp v5.l, v1.l, v2.l row_xmask:15
// GFX11: v_sub_nc_i16_e64_dpp v5.l, v1.l, v2.l row_xmask:15 row_mask:0xf bank_mask:0xf ; encoding: [0x05,0x00,0x0e,0xd7,0xfa,0x04,0x02,0x00,0x01,0x6f,0x01,0xff]

v_sub_nc_i16_e64_dpp v5.l, v1.l, v2.l quad_perm:[3,2,1,0] fi:0
// GFX11: v_sub_nc_i16_e64_dpp v5.l, v1.l, v2.l quad_perm:[3,2,1,0] row_mask:0xf bank_mask:0xf ; encoding: [0x05,0x00,0x0e,0xd7,0xfa,0x04,0x02,0x00,0x01,0x1b,0x00,0xff]

v_sub_nc_i16_e64_dpp v5.l, v1.l, v2.l quad_perm:[3,2,1,0] fi:1
// GFX11: v_sub_nc_i16_e64_dpp v5.l, v1.l, v2.l quad_perm:[3,2,1,0] row_mask:0xf bank_mask:0xf fi:1 ; encoding: [0x05,0x00,0x0e,0xd7,0xfa,0x04,0x02,0x00,0x01,0x1b,0x04,0xff]

v_sub_nc_i16_e64_dpp v5.l, v1.l, v2.l quad_perm:[3,2,1,0] row_mask:0x0 bank_mask:0x1
// GFX11: v_sub_nc_i16_e64_dpp v5.l, v1.l, v2.l quad_perm:[3,2,1,0] row_mask:0x0 bank_mask:0x1 ; encoding: [0x05,0x00,0x0e,0xd7,0xfa,0x04,0x02,0x00,0x01,0x1b,0x00,0x01]

v_sub_nc_i16_e64_dpp v5.l, v1.l, v2.l quad_perm:[3,2,1,0] row_mask:0x3 bank_mask:0x0
// GFX11: v_sub_nc_i16_e64_dpp v5.l, v1.l, v2.l quad_perm:[3,2,1,0] row_mask:0x3 bank_mask:0x0 ; encoding: [0x05,0x00,0x0e,0xd7,0xfa,0x04,0x02,0x00,0x01,0x1b,0x00,0x30]
	;; [unrolled: 3-line block ×3, first 2 shown]

v_sub_nc_i16_e64_dpp v5.l, v1.l, v2.l clamp quad_perm:[3,2,1,0]
// GFX11: v_sub_nc_i16_e64_dpp v5.l, v1.l, v2.l clamp quad_perm:[3,2,1,0] row_mask:0xf bank_mask:0xf ; encoding: [0x05,0x80,0x0e,0xd7,0xfa,0x04,0x02,0x00,0x01,0x1b,0x00,0xff]

v_sub_nc_i32_e64_dpp v5, v1, v2 quad_perm:[3,2,1,0]
// GFX11: v_sub_nc_i32_e64_dpp v5, v1, v2 quad_perm:[3,2,1,0] row_mask:0xf bank_mask:0xf ; encoding: [0x05,0x00,0x25,0xd7,0xfa,0x04,0x02,0x00,0x01,0x1b,0x00,0xff]

v_sub_nc_i32_e64_dpp v255, v255, v255 quad_perm:[3,2,1,0]
// GFX11: v_sub_nc_i32_e64_dpp v255, v255, v255 quad_perm:[3,2,1,0] row_mask:0xf bank_mask:0xf ; encoding: [0xff,0x00,0x25,0xd7,0xfa,0xfe,0x03,0x00,0xff,0x1b,0x00,0xff]

v_sub_nc_i32_e64_dpp v5, v1, v2 quad_perm:[3,2,1,0] bound_ctrl:0
// GFX11: v_sub_nc_i32_e64_dpp v5, v1, v2 quad_perm:[3,2,1,0] row_mask:0xf bank_mask:0xf ; encoding: [0x05,0x00,0x25,0xd7,0xfa,0x04,0x02,0x00,0x01,0x1b,0x00,0xff]

v_sub_nc_i32_e64_dpp v5, v1, v2 quad_perm:[3,2,1,0] bound_ctrl:1
// GFX11: v_sub_nc_i32_e64_dpp v5, v1, v2 quad_perm:[3,2,1,0] row_mask:0xf bank_mask:0xf bound_ctrl:1 ; encoding: [0x05,0x00,0x25,0xd7,0xfa,0x04,0x02,0x00,0x01,0x1b,0x08,0xff]

v_sub_nc_i32_e64_dpp v5, v1, v2 quad_perm:[0,1,2,3]
// GFX11: v_sub_nc_i32_e64_dpp v5, v1, v2 quad_perm:[0,1,2,3] row_mask:0xf bank_mask:0xf ; encoding: [0x05,0x00,0x25,0xd7,0xfa,0x04,0x02,0x00,0x01,0xe4,0x00,0xff]

v_sub_nc_i32_e64_dpp v5, v1, v2 row_half_mirror
// GFX11: v_sub_nc_i32_e64_dpp v5, v1, v2 row_half_mirror row_mask:0xf bank_mask:0xf ; encoding: [0x05,0x00,0x25,0xd7,0xfa,0x04,0x02,0x00,0x01,0x41,0x01,0xff]

v_sub_nc_i32_e64_dpp v5, v1, v2 row_mirror
// GFX11: v_sub_nc_i32_e64_dpp v5, v1, v2 row_mirror row_mask:0xf bank_mask:0xf ; encoding: [0x05,0x00,0x25,0xd7,0xfa,0x04,0x02,0x00,0x01,0x40,0x01,0xff]

v_sub_nc_i32_e64_dpp v5, v1, v2 row_ror:1
// GFX11: v_sub_nc_i32_e64_dpp v5, v1, v2 row_ror:1 row_mask:0xf bank_mask:0xf ; encoding: [0x05,0x00,0x25,0xd7,0xfa,0x04,0x02,0x00,0x01,0x21,0x01,0xff]

v_sub_nc_i32_e64_dpp v5, v1, v2 row_ror:15
// GFX11: v_sub_nc_i32_e64_dpp v5, v1, v2 row_ror:15 row_mask:0xf bank_mask:0xf ; encoding: [0x05,0x00,0x25,0xd7,0xfa,0x04,0x02,0x00,0x01,0x2f,0x01,0xff]

v_sub_nc_i32_e64_dpp v5, v1, v2 row_share:0
// GFX11: v_sub_nc_i32_e64_dpp v5, v1, v2 row_share:0 row_mask:0xf bank_mask:0xf ; encoding: [0x05,0x00,0x25,0xd7,0xfa,0x04,0x02,0x00,0x01,0x50,0x01,0xff]

v_sub_nc_i32_e64_dpp v5, v1, v2 row_share:15
// GFX11: v_sub_nc_i32_e64_dpp v5, v1, v2 row_share:15 row_mask:0xf bank_mask:0xf ; encoding: [0x05,0x00,0x25,0xd7,0xfa,0x04,0x02,0x00,0x01,0x5f,0x01,0xff]

v_sub_nc_i32_e64_dpp v5, v1, v2 row_shl:1
// GFX11: v_sub_nc_i32_e64_dpp v5, v1, v2 row_shl:1 row_mask:0xf bank_mask:0xf ; encoding: [0x05,0x00,0x25,0xd7,0xfa,0x04,0x02,0x00,0x01,0x01,0x01,0xff]

v_sub_nc_i32_e64_dpp v5, v1, v2 row_shl:15
// GFX11: v_sub_nc_i32_e64_dpp v5, v1, v2 row_shl:15 row_mask:0xf bank_mask:0xf ; encoding: [0x05,0x00,0x25,0xd7,0xfa,0x04,0x02,0x00,0x01,0x0f,0x01,0xff]

v_sub_nc_i32_e64_dpp v5, v1, v2 row_shr:1
// GFX11: v_sub_nc_i32_e64_dpp v5, v1, v2 row_shr:1 row_mask:0xf bank_mask:0xf ; encoding: [0x05,0x00,0x25,0xd7,0xfa,0x04,0x02,0x00,0x01,0x11,0x01,0xff]

v_sub_nc_i32_e64_dpp v5, v1, v2 row_shr:15
// GFX11: v_sub_nc_i32_e64_dpp v5, v1, v2 row_shr:15 row_mask:0xf bank_mask:0xf ; encoding: [0x05,0x00,0x25,0xd7,0xfa,0x04,0x02,0x00,0x01,0x1f,0x01,0xff]

v_sub_nc_i32_e64_dpp v5, v1, v2 row_xmask:0
// GFX11: v_sub_nc_i32_e64_dpp v5, v1, v2 row_xmask:0 row_mask:0xf bank_mask:0xf ; encoding: [0x05,0x00,0x25,0xd7,0xfa,0x04,0x02,0x00,0x01,0x60,0x01,0xff]

v_sub_nc_i32_e64_dpp v5, v1, v2 row_xmask:15
// GFX11: v_sub_nc_i32_e64_dpp v5, v1, v2 row_xmask:15 row_mask:0xf bank_mask:0xf ; encoding: [0x05,0x00,0x25,0xd7,0xfa,0x04,0x02,0x00,0x01,0x6f,0x01,0xff]

v_sub_nc_i32_e64_dpp v5, v1, v2 quad_perm:[3,2,1,0] fi:0
// GFX11: v_sub_nc_i32_e64_dpp v5, v1, v2 quad_perm:[3,2,1,0] row_mask:0xf bank_mask:0xf ; encoding: [0x05,0x00,0x25,0xd7,0xfa,0x04,0x02,0x00,0x01,0x1b,0x00,0xff]

v_sub_nc_i32_e64_dpp v5, v1, v2 quad_perm:[3,2,1,0] fi:1
// GFX11: v_sub_nc_i32_e64_dpp v5, v1, v2 quad_perm:[3,2,1,0] row_mask:0xf bank_mask:0xf fi:1 ; encoding: [0x05,0x00,0x25,0xd7,0xfa,0x04,0x02,0x00,0x01,0x1b,0x04,0xff]

v_sub_nc_i32_e64_dpp v5, v1, v2 quad_perm:[3,2,1,0] row_mask:0x0 bank_mask:0x1
// GFX11: v_sub_nc_i32_e64_dpp v5, v1, v2 quad_perm:[3,2,1,0] row_mask:0x0 bank_mask:0x1 ; encoding: [0x05,0x00,0x25,0xd7,0xfa,0x04,0x02,0x00,0x01,0x1b,0x00,0x01]

v_sub_nc_i32_e64_dpp v5, v1, v2 quad_perm:[3,2,1,0] row_mask:0x3 bank_mask:0x0
// GFX11: v_sub_nc_i32_e64_dpp v5, v1, v2 quad_perm:[3,2,1,0] row_mask:0x3 bank_mask:0x0 ; encoding: [0x05,0x00,0x25,0xd7,0xfa,0x04,0x02,0x00,0x01,0x1b,0x00,0x30]
	;; [unrolled: 3-line block ×3, first 2 shown]

v_sub_nc_i32_e64_dpp v5, v1, v2 clamp quad_perm:[3,2,1,0]
// GFX11: v_sub_nc_i32_e64_dpp v5, v1, v2 clamp quad_perm:[3,2,1,0] row_mask:0xf bank_mask:0xf ; encoding: [0x05,0x80,0x25,0xd7,0xfa,0x04,0x02,0x00,0x01,0x1b,0x00,0xff]

v_sub_nc_u16_e64_dpp v5.l, v1.l, v2.l quad_perm:[3,2,1,0]
// GFX11: v_sub_nc_u16_e64_dpp v5.l, v1.l, v2.l quad_perm:[3,2,1,0] row_mask:0xf bank_mask:0xf ; encoding: [0x05,0x00,0x04,0xd7,0xfa,0x04,0x02,0x00,0x01,0x1b,0x00,0xff]

v_sub_nc_u16_e64_dpp v255.l, v255.l, v255.l quad_perm:[3,2,1,0]
// GFX11: v_sub_nc_u16_e64_dpp v255.l, v255.l, v255.l quad_perm:[3,2,1,0] row_mask:0xf bank_mask:0xf ; encoding: [0xff,0x00,0x04,0xd7,0xfa,0xfe,0x03,0x00,0xff,0x1b,0x00,0xff]

v_sub_nc_u16_e64_dpp v5.l, v1.h, v2.l op_sel:[1,0,0] quad_perm:[3,2,1,0]
// GFX11: v_sub_nc_u16_e64_dpp v5.l, v1.h, v2.l op_sel:[1,0,0] quad_perm:[3,2,1,0] row_mask:0xf bank_mask:0xf ; encoding: [0x05,0x08,0x04,0xd7,0xfa,0x04,0x02,0x00,0x01,0x1b,0x00,0xff]

v_sub_nc_u16_e64_dpp v5.l, v1.l, v2.h op_sel:[0,1,0] quad_perm:[3,2,1,0]
// GFX11: v_sub_nc_u16_e64_dpp v5.l, v1.l, v2.h op_sel:[0,1,0] quad_perm:[3,2,1,0] row_mask:0xf bank_mask:0xf ; encoding: [0x05,0x10,0x04,0xd7,0xfa,0x04,0x02,0x00,0x01,0x1b,0x00,0xff]

v_sub_nc_u16_e64_dpp v5.l, v1.l, v2.l quad_perm:[3,2,1,0] bound_ctrl:0
// GFX11: v_sub_nc_u16_e64_dpp v5.l, v1.l, v2.l quad_perm:[3,2,1,0] row_mask:0xf bank_mask:0xf ; encoding: [0x05,0x00,0x04,0xd7,0xfa,0x04,0x02,0x00,0x01,0x1b,0x00,0xff]

v_sub_nc_u16_e64_dpp v5.l, v1.l, v2.l quad_perm:[3,2,1,0] bound_ctrl:1
// GFX11: v_sub_nc_u16_e64_dpp v5.l, v1.l, v2.l quad_perm:[3,2,1,0] row_mask:0xf bank_mask:0xf bound_ctrl:1 ; encoding: [0x05,0x00,0x04,0xd7,0xfa,0x04,0x02,0x00,0x01,0x1b,0x08,0xff]

v_sub_nc_u16_e64_dpp v5.l, v1.l, v2.l quad_perm:[0,1,2,3]
// GFX11: v_sub_nc_u16_e64_dpp v5.l, v1.l, v2.l quad_perm:[0,1,2,3] row_mask:0xf bank_mask:0xf ; encoding: [0x05,0x00,0x04,0xd7,0xfa,0x04,0x02,0x00,0x01,0xe4,0x00,0xff]

v_sub_nc_u16_e64_dpp v5.l, v1.l, v2.l row_half_mirror
// GFX11: v_sub_nc_u16_e64_dpp v5.l, v1.l, v2.l row_half_mirror row_mask:0xf bank_mask:0xf ; encoding: [0x05,0x00,0x04,0xd7,0xfa,0x04,0x02,0x00,0x01,0x41,0x01,0xff]

v_sub_nc_u16_e64_dpp v5.l, v1.l, v2.l row_mirror
// GFX11: v_sub_nc_u16_e64_dpp v5.l, v1.l, v2.l row_mirror row_mask:0xf bank_mask:0xf ; encoding: [0x05,0x00,0x04,0xd7,0xfa,0x04,0x02,0x00,0x01,0x40,0x01,0xff]

v_sub_nc_u16_e64_dpp v5.l, v1.l, v2.l row_ror:1
// GFX11: v_sub_nc_u16_e64_dpp v5.l, v1.l, v2.l row_ror:1 row_mask:0xf bank_mask:0xf ; encoding: [0x05,0x00,0x04,0xd7,0xfa,0x04,0x02,0x00,0x01,0x21,0x01,0xff]

v_sub_nc_u16_e64_dpp v5.l, v1.l, v2.l row_ror:15
// GFX11: v_sub_nc_u16_e64_dpp v5.l, v1.l, v2.l row_ror:15 row_mask:0xf bank_mask:0xf ; encoding: [0x05,0x00,0x04,0xd7,0xfa,0x04,0x02,0x00,0x01,0x2f,0x01,0xff]

v_sub_nc_u16_e64_dpp v5.l, v1.l, v2.l row_share:0
// GFX11: v_sub_nc_u16_e64_dpp v5.l, v1.l, v2.l row_share:0 row_mask:0xf bank_mask:0xf ; encoding: [0x05,0x00,0x04,0xd7,0xfa,0x04,0x02,0x00,0x01,0x50,0x01,0xff]

v_sub_nc_u16_e64_dpp v5.l, v1.l, v2.l row_share:15
// GFX11: v_sub_nc_u16_e64_dpp v5.l, v1.l, v2.l row_share:15 row_mask:0xf bank_mask:0xf ; encoding: [0x05,0x00,0x04,0xd7,0xfa,0x04,0x02,0x00,0x01,0x5f,0x01,0xff]

v_sub_nc_u16_e64_dpp v5.l, v1.l, v2.l row_shl:1
// GFX11: v_sub_nc_u16_e64_dpp v5.l, v1.l, v2.l row_shl:1 row_mask:0xf bank_mask:0xf ; encoding: [0x05,0x00,0x04,0xd7,0xfa,0x04,0x02,0x00,0x01,0x01,0x01,0xff]

v_sub_nc_u16_e64_dpp v5.l, v1.l, v2.l row_shl:15
// GFX11: v_sub_nc_u16_e64_dpp v5.l, v1.l, v2.l row_shl:15 row_mask:0xf bank_mask:0xf ; encoding: [0x05,0x00,0x04,0xd7,0xfa,0x04,0x02,0x00,0x01,0x0f,0x01,0xff]

v_sub_nc_u16_e64_dpp v5.l, v1.l, v2.l row_shr:1
// GFX11: v_sub_nc_u16_e64_dpp v5.l, v1.l, v2.l row_shr:1 row_mask:0xf bank_mask:0xf ; encoding: [0x05,0x00,0x04,0xd7,0xfa,0x04,0x02,0x00,0x01,0x11,0x01,0xff]

v_sub_nc_u16_e64_dpp v5.l, v1.l, v2.l row_shr:15
// GFX11: v_sub_nc_u16_e64_dpp v5.l, v1.l, v2.l row_shr:15 row_mask:0xf bank_mask:0xf ; encoding: [0x05,0x00,0x04,0xd7,0xfa,0x04,0x02,0x00,0x01,0x1f,0x01,0xff]

v_sub_nc_u16_e64_dpp v5.l, v1.l, v2.l row_xmask:0
// GFX11: v_sub_nc_u16_e64_dpp v5.l, v1.l, v2.l row_xmask:0 row_mask:0xf bank_mask:0xf ; encoding: [0x05,0x00,0x04,0xd7,0xfa,0x04,0x02,0x00,0x01,0x60,0x01,0xff]

v_sub_nc_u16_e64_dpp v5.l, v1.l, v2.l row_xmask:15
// GFX11: v_sub_nc_u16_e64_dpp v5.l, v1.l, v2.l row_xmask:15 row_mask:0xf bank_mask:0xf ; encoding: [0x05,0x00,0x04,0xd7,0xfa,0x04,0x02,0x00,0x01,0x6f,0x01,0xff]

v_sub_nc_u16_e64_dpp v5.l, v1.l, v2.l quad_perm:[3,2,1,0] fi:0
// GFX11: v_sub_nc_u16_e64_dpp v5.l, v1.l, v2.l quad_perm:[3,2,1,0] row_mask:0xf bank_mask:0xf ; encoding: [0x05,0x00,0x04,0xd7,0xfa,0x04,0x02,0x00,0x01,0x1b,0x00,0xff]

v_sub_nc_u16_e64_dpp v5.l, v1.l, v2.l quad_perm:[3,2,1,0] fi:1
// GFX11: v_sub_nc_u16_e64_dpp v5.l, v1.l, v2.l quad_perm:[3,2,1,0] row_mask:0xf bank_mask:0xf fi:1 ; encoding: [0x05,0x00,0x04,0xd7,0xfa,0x04,0x02,0x00,0x01,0x1b,0x04,0xff]

v_sub_nc_u16_e64_dpp v5.l, v1.l, v2.l quad_perm:[3,2,1,0] row_mask:0x0 bank_mask:0x1
// GFX11: v_sub_nc_u16_e64_dpp v5.l, v1.l, v2.l quad_perm:[3,2,1,0] row_mask:0x0 bank_mask:0x1 ; encoding: [0x05,0x00,0x04,0xd7,0xfa,0x04,0x02,0x00,0x01,0x1b,0x00,0x01]

v_sub_nc_u16_e64_dpp v5.l, v1.l, v2.l quad_perm:[3,2,1,0] row_mask:0x3 bank_mask:0x0
// GFX11: v_sub_nc_u16_e64_dpp v5.l, v1.l, v2.l quad_perm:[3,2,1,0] row_mask:0x3 bank_mask:0x0 ; encoding: [0x05,0x00,0x04,0xd7,0xfa,0x04,0x02,0x00,0x01,0x1b,0x00,0x30]
	;; [unrolled: 3-line block ×3, first 2 shown]

v_sub_nc_u16_e64_dpp v5.l, v1.l, v2.l clamp quad_perm:[3,2,1,0]
// GFX11: v_sub_nc_u16_e64_dpp v5.l, v1.l, v2.l clamp quad_perm:[3,2,1,0] row_mask:0xf bank_mask:0xf ; encoding: [0x05,0x80,0x04,0xd7,0xfa,0x04,0x02,0x00,0x01,0x1b,0x00,0xff]

v_subrev_co_u32_e64_dpp v5, s6, v1, v2 quad_perm:[3,2,1,0]
// W32: v_subrev_co_u32_e64_dpp v5, s6, v1, v2 quad_perm:[3,2,1,0] row_mask:0xf bank_mask:0xf ; encoding: [0x05,0x06,0x02,0xd7,0xfa,0x04,0x02,0x00,0x01,0x1b,0x00,0xff]
// W64-ERR: :[[@LINE-2]]:29: error: invalid operand for instruction

v_subrev_co_u32_e64_dpp v255, null, v255, v255 quad_perm:[3,2,1,0]
// GFX11: v_subrev_co_u32_e64_dpp v255, null, v255, v255 quad_perm:[3,2,1,0] row_mask:0xf bank_mask:0xf ; encoding: [0xff,0x7c,0x02,0xd7,0xfa,0xfe,0x03,0x00,0xff,0x1b,0x00,0xff]

v_subrev_co_u32_e64_dpp v5, s105, v1, v2 quad_perm:[3,2,1,0]
// W32: v_subrev_co_u32_e64_dpp v5, s105, v1, v2 quad_perm:[3,2,1,0] row_mask:0xf bank_mask:0xf ; encoding: [0x05,0x69,0x02,0xd7,0xfa,0x04,0x02,0x00,0x01,0x1b,0x00,0xff]
// W64-ERR: :[[@LINE-2]]:29: error: invalid operand for instruction

v_subrev_co_u32_e64_dpp v5, s[12:13], v1, v2 quad_perm:[3,2,1,0]
// W32-ERR: :[[@LINE-1]]:29: error: invalid operand for instruction
// W64: v_subrev_co_u32_e64_dpp v5, s[12:13], v1, v2 quad_perm:[3,2,1,0] row_mask:0xf bank_mask:0xf ; encoding: [0x05,0x0c,0x02,0xd7,0xfa,0x04,0x02,0x00,0x01,0x1b,0x00,0xff]

v_subrev_co_u32_e64_dpp v5, s[104:105], v1, v2 quad_perm:[3,2,1,0]
// W32-ERR: :[[@LINE-1]]:29: error: invalid operand for instruction
// W64: v_subrev_co_u32_e64_dpp v5, s[104:105], v1, v2 quad_perm:[3,2,1,0] row_mask:0xf bank_mask:0xf ; encoding: [0x05,0x68,0x02,0xd7,0xfa,0x04,0x02,0x00,0x01,0x1b,0x00,0xff]

v_subrev_co_u32_e64_dpp v5, vcc_lo, v1, v2 quad_perm:[3,2,1,0]
// W32: v_subrev_co_u32_e64_dpp v5, vcc_lo, v1, v2 quad_perm:[3,2,1,0] row_mask:0xf bank_mask:0xf ; encoding: [0x05,0x6a,0x02,0xd7,0xfa,0x04,0x02,0x00,0x01,0x1b,0x00,0xff]
// W64-ERR: :[[@LINE-2]]:29: error: invalid operand for instruction

v_subrev_co_u32_e64_dpp v5, vcc_hi, v1, v2 quad_perm:[3,2,1,0]
// W32: v_subrev_co_u32_e64_dpp v5, vcc_hi, v1, v2 quad_perm:[3,2,1,0] row_mask:0xf bank_mask:0xf ; encoding: [0x05,0x6b,0x02,0xd7,0xfa,0x04,0x02,0x00,0x01,0x1b,0x00,0xff]
// W64-ERR: :[[@LINE-2]]:29: error: invalid operand for instruction

v_subrev_co_u32_e64_dpp v5, vcc, v1, v2 quad_perm:[3,2,1,0]
// W32-ERR: :[[@LINE-1]]:29: error: invalid operand for instruction
// W64: v_subrev_co_u32_e64_dpp v5, vcc, v1, v2 quad_perm:[3,2,1,0] row_mask:0xf bank_mask:0xf ; encoding: [0x05,0x6a,0x02,0xd7,0xfa,0x04,0x02,0x00,0x01,0x1b,0x00,0xff]

v_subrev_co_u32_e64_dpp v5, ttmp15, v1, v2 quad_perm:[3,2,1,0]
// W32: v_subrev_co_u32_e64_dpp v5, ttmp15, v1, v2 quad_perm:[3,2,1,0] row_mask:0xf bank_mask:0xf ; encoding: [0x05,0x7b,0x02,0xd7,0xfa,0x04,0x02,0x00,0x01,0x1b,0x00,0xff]
// W64-ERR: :[[@LINE-2]]:29: error: invalid operand for instruction

v_subrev_co_u32_e64_dpp v5, ttmp[14:15], v1, v2 quad_perm:[3,2,1,0]
// W32-ERR: :[[@LINE-1]]:29: error: invalid operand for instruction
// W64: v_subrev_co_u32_e64_dpp v5, ttmp[14:15], v1, v2 quad_perm:[3,2,1,0] row_mask:0xf bank_mask:0xf ; encoding: [0x05,0x7a,0x02,0xd7,0xfa,0x04,0x02,0x00,0x01,0x1b,0x00,0xff]

v_subrev_co_u32_e64_dpp v5, null, v1, v2 quad_perm:[3,2,1,0]
// GFX11: v_subrev_co_u32_e64_dpp v5, null, v1, v2 quad_perm:[3,2,1,0] row_mask:0xf bank_mask:0xf ; encoding: [0x05,0x7c,0x02,0xd7,0xfa,0x04,0x02,0x00,0x01,0x1b,0x00,0xff]

v_subrev_co_u32_e64_dpp v5, s6, v1, v2 quad_perm:[3,2,1,0] bound_ctrl:0
// W32: v_subrev_co_u32_e64_dpp v5, s6, v1, v2 quad_perm:[3,2,1,0] row_mask:0xf bank_mask:0xf ; encoding: [0x05,0x06,0x02,0xd7,0xfa,0x04,0x02,0x00,0x01,0x1b,0x00,0xff]
// W64-ERR: :[[@LINE-2]]:29: error: invalid operand for instruction

v_subrev_co_u32_e64_dpp v5, s6, v1, v2 quad_perm:[3,2,1,0] bound_ctrl:1
// W32: v_subrev_co_u32_e64_dpp v5, s6, v1, v2 quad_perm:[3,2,1,0] row_mask:0xf bank_mask:0xf bound_ctrl:1 ; encoding: [0x05,0x06,0x02,0xd7,0xfa,0x04,0x02,0x00,0x01,0x1b,0x08,0xff]
// W64-ERR: :[[@LINE-2]]:29: error: invalid operand for instruction

v_subrev_co_u32_e64_dpp v5, s6, v1, v2 quad_perm:[0,1,2,3]
// W32: v_subrev_co_u32_e64_dpp v5, s6, v1, v2 quad_perm:[0,1,2,3] row_mask:0xf bank_mask:0xf ; encoding: [0x05,0x06,0x02,0xd7,0xfa,0x04,0x02,0x00,0x01,0xe4,0x00,0xff]
// W64-ERR: :[[@LINE-2]]:29: error: invalid operand for instruction

v_subrev_co_u32_e64_dpp v5, s6, v1, v2 row_half_mirror
// W32: v_subrev_co_u32_e64_dpp v5, s6, v1, v2 row_half_mirror row_mask:0xf bank_mask:0xf ; encoding: [0x05,0x06,0x02,0xd7,0xfa,0x04,0x02,0x00,0x01,0x41,0x01,0xff]
// W64-ERR: :[[@LINE-2]]:29: error: invalid operand for instruction

v_subrev_co_u32_e64_dpp v5, s6, v1, v2 row_mirror
// W32: v_subrev_co_u32_e64_dpp v5, s6, v1, v2 row_mirror row_mask:0xf bank_mask:0xf ; encoding: [0x05,0x06,0x02,0xd7,0xfa,0x04,0x02,0x00,0x01,0x40,0x01,0xff]
// W64-ERR: :[[@LINE-2]]:29: error: invalid operand for instruction

v_subrev_co_u32_e64_dpp v5, s6, v1, v2 row_ror:1
// W32: v_subrev_co_u32_e64_dpp v5, s6, v1, v2 row_ror:1 row_mask:0xf bank_mask:0xf ; encoding: [0x05,0x06,0x02,0xd7,0xfa,0x04,0x02,0x00,0x01,0x21,0x01,0xff]
// W64-ERR: :[[@LINE-2]]:29: error: invalid operand for instruction

v_subrev_co_u32_e64_dpp v5, s6, v1, v2 row_ror:15
// W32: v_subrev_co_u32_e64_dpp v5, s6, v1, v2 row_ror:15 row_mask:0xf bank_mask:0xf ; encoding: [0x05,0x06,0x02,0xd7,0xfa,0x04,0x02,0x00,0x01,0x2f,0x01,0xff]
// W64-ERR: :[[@LINE-2]]:29: error: invalid operand for instruction

v_subrev_co_u32_e64_dpp v5, s6, v1, v2 row_share:0
// W32: v_subrev_co_u32_e64_dpp v5, s6, v1, v2 row_share:0 row_mask:0xf bank_mask:0xf ; encoding: [0x05,0x06,0x02,0xd7,0xfa,0x04,0x02,0x00,0x01,0x50,0x01,0xff]
// W64-ERR: :[[@LINE-2]]:29: error: invalid operand for instruction

v_subrev_co_u32_e64_dpp v5, s6, v1, v2 row_share:15
// W32: v_subrev_co_u32_e64_dpp v5, s6, v1, v2 row_share:15 row_mask:0xf bank_mask:0xf ; encoding: [0x05,0x06,0x02,0xd7,0xfa,0x04,0x02,0x00,0x01,0x5f,0x01,0xff]
// W64-ERR: :[[@LINE-2]]:29: error: invalid operand for instruction

v_subrev_co_u32_e64_dpp v5, s6, v1, v2 row_shl:1
// W32: v_subrev_co_u32_e64_dpp v5, s6, v1, v2 row_shl:1 row_mask:0xf bank_mask:0xf ; encoding: [0x05,0x06,0x02,0xd7,0xfa,0x04,0x02,0x00,0x01,0x01,0x01,0xff]
// W64-ERR: :[[@LINE-2]]:29: error: invalid operand for instruction

v_subrev_co_u32_e64_dpp v5, s6, v1, v2 row_shl:15
// W32: v_subrev_co_u32_e64_dpp v5, s6, v1, v2 row_shl:15 row_mask:0xf bank_mask:0xf ; encoding: [0x05,0x06,0x02,0xd7,0xfa,0x04,0x02,0x00,0x01,0x0f,0x01,0xff]
// W64-ERR: :[[@LINE-2]]:29: error: invalid operand for instruction

v_subrev_co_u32_e64_dpp v5, s6, v1, v2 row_shr:1
// W32: v_subrev_co_u32_e64_dpp v5, s6, v1, v2 row_shr:1 row_mask:0xf bank_mask:0xf ; encoding: [0x05,0x06,0x02,0xd7,0xfa,0x04,0x02,0x00,0x01,0x11,0x01,0xff]
// W64-ERR: :[[@LINE-2]]:29: error: invalid operand for instruction

v_subrev_co_u32_e64_dpp v5, s6, v1, v2 row_shr:15
// W32: v_subrev_co_u32_e64_dpp v5, s6, v1, v2 row_shr:15 row_mask:0xf bank_mask:0xf ; encoding: [0x05,0x06,0x02,0xd7,0xfa,0x04,0x02,0x00,0x01,0x1f,0x01,0xff]
// W64-ERR: :[[@LINE-2]]:29: error: invalid operand for instruction

v_subrev_co_u32_e64_dpp v5, s6, v1, v2 row_xmask:0
// W32: v_subrev_co_u32_e64_dpp v5, s6, v1, v2 row_xmask:0 row_mask:0xf bank_mask:0xf ; encoding: [0x05,0x06,0x02,0xd7,0xfa,0x04,0x02,0x00,0x01,0x60,0x01,0xff]
// W64-ERR: :[[@LINE-2]]:29: error: invalid operand for instruction

v_subrev_co_u32_e64_dpp v5, s6, v1, v2 row_xmask:15
// W32: v_subrev_co_u32_e64_dpp v5, s6, v1, v2 row_xmask:15 row_mask:0xf bank_mask:0xf ; encoding: [0x05,0x06,0x02,0xd7,0xfa,0x04,0x02,0x00,0x01,0x6f,0x01,0xff]
// W64-ERR: :[[@LINE-2]]:29: error: invalid operand for instruction

v_subrev_co_u32_e64_dpp v5, s6, v1, v2 quad_perm:[3,2,1,0] fi:0
// W32: v_subrev_co_u32_e64_dpp v5, s6, v1, v2 quad_perm:[3,2,1,0] row_mask:0xf bank_mask:0xf ; encoding: [0x05,0x06,0x02,0xd7,0xfa,0x04,0x02,0x00,0x01,0x1b,0x00,0xff]
// W64-ERR: :[[@LINE-2]]:29: error: invalid operand for instruction

v_subrev_co_u32_e64_dpp v5, s6, v1, v2 quad_perm:[3,2,1,0] fi:1
// W32: v_subrev_co_u32_e64_dpp v5, s6, v1, v2 quad_perm:[3,2,1,0] row_mask:0xf bank_mask:0xf fi:1 ; encoding: [0x05,0x06,0x02,0xd7,0xfa,0x04,0x02,0x00,0x01,0x1b,0x04,0xff]
// W64-ERR: :[[@LINE-2]]:29: error: invalid operand for instruction

v_subrev_co_u32_e64_dpp v5, s6, v1, v2 quad_perm:[3,2,1,0] row_mask:0x0 bank_mask:0x1
// W32: v_subrev_co_u32_e64_dpp v5, s6, v1, v2 quad_perm:[3,2,1,0] row_mask:0x0 bank_mask:0x1 ; encoding: [0x05,0x06,0x02,0xd7,0xfa,0x04,0x02,0x00,0x01,0x1b,0x00,0x01]
// W64-ERR: :[[@LINE-2]]:29: error: invalid operand for instruction

v_subrev_co_u32_e64_dpp v5, s6, v1, v2 quad_perm:[3,2,1,0] row_mask:0x3 bank_mask:0x0
// W32: v_subrev_co_u32_e64_dpp v5, s6, v1, v2 quad_perm:[3,2,1,0] row_mask:0x3 bank_mask:0x0 ; encoding: [0x05,0x06,0x02,0xd7,0xfa,0x04,0x02,0x00,0x01,0x1b,0x00,0x30]
	;; [unrolled: 4-line block ×3, first 2 shown]
// W64-ERR: :[[@LINE-2]]:29: error: invalid operand for instruction

v_subrev_co_u32_e64_dpp v5, s6, v1, v2 clamp quad_perm:[3,2,1,0]
// W32: v_subrev_co_u32_e64_dpp v5, s6, v1, v2 clamp quad_perm:[3,2,1,0] row_mask:0xf bank_mask:0xf ; encoding: [0x05,0x86,0x02,0xd7,0xfa,0x04,0x02,0x00,0x01,0x1b,0x00,0xff]
// W64-ERR: :[[@LINE-2]]:29: error: invalid operand for instruction

v_xad_u32_e64_dpp v5, v1, v2, v3 quad_perm:[3,2,1,0]
// GFX11: v_xad_u32_e64_dpp v5, v1, v2, v3 quad_perm:[3,2,1,0] row_mask:0xf bank_mask:0xf ; encoding: [0x05,0x00,0x45,0xd6,0xfa,0x04,0x0e,0x04,0x01,0x1b,0x00,0xff]

v_xad_u32_e64_dpp v255, v255, v255, v255 quad_perm:[3,2,1,0]
// GFX11: v_xad_u32_e64_dpp v255, v255, v255, v255 quad_perm:[3,2,1,0] row_mask:0xf bank_mask:0xf ; encoding: [0xff,0x00,0x45,0xd6,0xfa,0xfe,0xff,0x07,0xff,0x1b,0x00,0xff]

v_xad_u32_e64_dpp v5, v1, v2, -1 quad_perm:[3,2,1,0]
// GFX11: v_xad_u32_e64_dpp v5, v1, v2, -1 quad_perm:[3,2,1,0] row_mask:0xf bank_mask:0xf ; encoding: [0x05,0x00,0x45,0xd6,0xfa,0x04,0x06,0x03,0x01,0x1b,0x00,0xff]

v_xad_u32_e64_dpp v5, v1, v2, 0.5 quad_perm:[3,2,1,0]
// GFX11: v_xad_u32_e64_dpp v5, v1, v2, 0.5 quad_perm:[3,2,1,0] row_mask:0xf bank_mask:0xf ; encoding: [0x05,0x00,0x45,0xd6,0xfa,0x04,0xc2,0x03,0x01,0x1b,0x00,0xff]

v_xad_u32_e64_dpp v5, v1, v2, exec_hi quad_perm:[3,2,1,0]
// GFX11: v_xad_u32_e64_dpp v5, v1, v2, exec_hi quad_perm:[3,2,1,0] row_mask:0xf bank_mask:0xf ; encoding: [0x05,0x00,0x45,0xd6,0xfa,0x04,0xfe,0x01,0x01,0x1b,0x00,0xff]

v_xad_u32_e64_dpp v5, v1, v2, exec_lo quad_perm:[3,2,1,0]
// GFX11: v_xad_u32_e64_dpp v5, v1, v2, exec_lo quad_perm:[3,2,1,0] row_mask:0xf bank_mask:0xf ; encoding: [0x05,0x00,0x45,0xd6,0xfa,0x04,0xfa,0x01,0x01,0x1b,0x00,0xff]

v_xad_u32_e64_dpp v5, v1, v2, m0 quad_perm:[3,2,1,0]
// GFX11: v_xad_u32_e64_dpp v5, v1, v2, m0 quad_perm:[3,2,1,0] row_mask:0xf bank_mask:0xf ; encoding: [0x05,0x00,0x45,0xd6,0xfa,0x04,0xf6,0x01,0x01,0x1b,0x00,0xff]

v_xad_u32_e64_dpp v5, v1, v2, null quad_perm:[3,2,1,0]
// GFX11: v_xad_u32_e64_dpp v5, v1, v2, null quad_perm:[3,2,1,0] row_mask:0xf bank_mask:0xf ; encoding: [0x05,0x00,0x45,0xd6,0xfa,0x04,0xf2,0x01,0x01,0x1b,0x00,0xff]

v_xad_u32_e64_dpp v5, v1, v2, s105 quad_perm:[3,2,1,0]
// GFX11: v_xad_u32_e64_dpp v5, v1, v2, s105 quad_perm:[3,2,1,0] row_mask:0xf bank_mask:0xf ; encoding: [0x05,0x00,0x45,0xd6,0xfa,0x04,0xa6,0x01,0x01,0x1b,0x00,0xff]

v_xad_u32_e64_dpp v5, v1, v2, s3 quad_perm:[3,2,1,0]
// GFX11: v_xad_u32_e64_dpp v5, v1, v2, s3 quad_perm:[3,2,1,0] row_mask:0xf bank_mask:0xf ; encoding: [0x05,0x00,0x45,0xd6,0xfa,0x04,0x0e,0x00,0x01,0x1b,0x00,0xff]

v_xad_u32_e64_dpp v5, v1, v2, src_scc quad_perm:[3,2,1,0]
// GFX11: v_xad_u32_e64_dpp v5, v1, v2, src_scc quad_perm:[3,2,1,0] row_mask:0xf bank_mask:0xf ; encoding: [0x05,0x00,0x45,0xd6,0xfa,0x04,0xf6,0x03,0x01,0x1b,0x00,0xff]

v_xad_u32_e64_dpp v5, v1, v2, ttmp15 quad_perm:[3,2,1,0]
// GFX11: v_xad_u32_e64_dpp v5, v1, v2, ttmp15 quad_perm:[3,2,1,0] row_mask:0xf bank_mask:0xf ; encoding: [0x05,0x00,0x45,0xd6,0xfa,0x04,0xee,0x01,0x01,0x1b,0x00,0xff]

v_xad_u32_e64_dpp v5, v1, v2, v255 quad_perm:[3,2,1,0]
// GFX11: v_xad_u32_e64_dpp v5, v1, v2, v255 quad_perm:[3,2,1,0] row_mask:0xf bank_mask:0xf ; encoding: [0x05,0x00,0x45,0xd6,0xfa,0x04,0xfe,0x07,0x01,0x1b,0x00,0xff]

v_xad_u32_e64_dpp v5, v1, v2, vcc_hi quad_perm:[3,2,1,0]
// GFX11: v_xad_u32_e64_dpp v5, v1, v2, vcc_hi quad_perm:[3,2,1,0] row_mask:0xf bank_mask:0xf ; encoding: [0x05,0x00,0x45,0xd6,0xfa,0x04,0xae,0x01,0x01,0x1b,0x00,0xff]

v_xad_u32_e64_dpp v5, v1, v2, vcc_lo quad_perm:[3,2,1,0]
// GFX11: v_xad_u32_e64_dpp v5, v1, v2, vcc_lo quad_perm:[3,2,1,0] row_mask:0xf bank_mask:0xf ; encoding: [0x05,0x00,0x45,0xd6,0xfa,0x04,0xaa,0x01,0x01,0x1b,0x00,0xff]

v_xad_u32_e64_dpp v5, v1, v2, v3 quad_perm:[3,2,1,0] bound_ctrl:0
// GFX11: v_xad_u32_e64_dpp v5, v1, v2, v3 quad_perm:[3,2,1,0] row_mask:0xf bank_mask:0xf ; encoding: [0x05,0x00,0x45,0xd6,0xfa,0x04,0x0e,0x04,0x01,0x1b,0x00,0xff]

v_xad_u32_e64_dpp v5, v1, v2, v3 quad_perm:[3,2,1,0] bound_ctrl:1
// GFX11: v_xad_u32_e64_dpp v5, v1, v2, v3 quad_perm:[3,2,1,0] row_mask:0xf bank_mask:0xf bound_ctrl:1 ; encoding: [0x05,0x00,0x45,0xd6,0xfa,0x04,0x0e,0x04,0x01,0x1b,0x08,0xff]

v_xad_u32_e64_dpp v5, v1, v2, v3 quad_perm:[0,1,2,3]
// GFX11: v_xad_u32_e64_dpp v5, v1, v2, v3 quad_perm:[0,1,2,3] row_mask:0xf bank_mask:0xf ; encoding: [0x05,0x00,0x45,0xd6,0xfa,0x04,0x0e,0x04,0x01,0xe4,0x00,0xff]

v_xad_u32_e64_dpp v5, v1, v2, v3 row_half_mirror
// GFX11: v_xad_u32_e64_dpp v5, v1, v2, v3 row_half_mirror row_mask:0xf bank_mask:0xf ; encoding: [0x05,0x00,0x45,0xd6,0xfa,0x04,0x0e,0x04,0x01,0x41,0x01,0xff]

v_xad_u32_e64_dpp v5, v1, v2, v3 row_mirror
// GFX11: v_xad_u32_e64_dpp v5, v1, v2, v3 row_mirror row_mask:0xf bank_mask:0xf ; encoding: [0x05,0x00,0x45,0xd6,0xfa,0x04,0x0e,0x04,0x01,0x40,0x01,0xff]

v_xad_u32_e64_dpp v5, v1, v2, v3 row_ror:1
// GFX11: v_xad_u32_e64_dpp v5, v1, v2, v3 row_ror:1 row_mask:0xf bank_mask:0xf ; encoding: [0x05,0x00,0x45,0xd6,0xfa,0x04,0x0e,0x04,0x01,0x21,0x01,0xff]

v_xad_u32_e64_dpp v5, v1, v2, v3 row_ror:15
// GFX11: v_xad_u32_e64_dpp v5, v1, v2, v3 row_ror:15 row_mask:0xf bank_mask:0xf ; encoding: [0x05,0x00,0x45,0xd6,0xfa,0x04,0x0e,0x04,0x01,0x2f,0x01,0xff]

v_xad_u32_e64_dpp v5, v1, v2, v3 row_share:0
// GFX11: v_xad_u32_e64_dpp v5, v1, v2, v3 row_share:0 row_mask:0xf bank_mask:0xf ; encoding: [0x05,0x00,0x45,0xd6,0xfa,0x04,0x0e,0x04,0x01,0x50,0x01,0xff]

v_xad_u32_e64_dpp v5, v1, v2, v3 row_share:15
// GFX11: v_xad_u32_e64_dpp v5, v1, v2, v3 row_share:15 row_mask:0xf bank_mask:0xf ; encoding: [0x05,0x00,0x45,0xd6,0xfa,0x04,0x0e,0x04,0x01,0x5f,0x01,0xff]

v_xad_u32_e64_dpp v5, v1, v2, v3 row_shl:1
// GFX11: v_xad_u32_e64_dpp v5, v1, v2, v3 row_shl:1 row_mask:0xf bank_mask:0xf ; encoding: [0x05,0x00,0x45,0xd6,0xfa,0x04,0x0e,0x04,0x01,0x01,0x01,0xff]

v_xad_u32_e64_dpp v5, v1, v2, v3 row_shl:15
// GFX11: v_xad_u32_e64_dpp v5, v1, v2, v3 row_shl:15 row_mask:0xf bank_mask:0xf ; encoding: [0x05,0x00,0x45,0xd6,0xfa,0x04,0x0e,0x04,0x01,0x0f,0x01,0xff]

v_xad_u32_e64_dpp v5, v1, v2, v3 row_shr:1
// GFX11: v_xad_u32_e64_dpp v5, v1, v2, v3 row_shr:1 row_mask:0xf bank_mask:0xf ; encoding: [0x05,0x00,0x45,0xd6,0xfa,0x04,0x0e,0x04,0x01,0x11,0x01,0xff]

v_xad_u32_e64_dpp v5, v1, v2, v3 row_shr:15
// GFX11: v_xad_u32_e64_dpp v5, v1, v2, v3 row_shr:15 row_mask:0xf bank_mask:0xf ; encoding: [0x05,0x00,0x45,0xd6,0xfa,0x04,0x0e,0x04,0x01,0x1f,0x01,0xff]

v_xad_u32_e64_dpp v5, v1, v2, v3 row_xmask:0
// GFX11: v_xad_u32_e64_dpp v5, v1, v2, v3 row_xmask:0 row_mask:0xf bank_mask:0xf ; encoding: [0x05,0x00,0x45,0xd6,0xfa,0x04,0x0e,0x04,0x01,0x60,0x01,0xff]

v_xad_u32_e64_dpp v5, v1, v2, v3 row_xmask:15
// GFX11: v_xad_u32_e64_dpp v5, v1, v2, v3 row_xmask:15 row_mask:0xf bank_mask:0xf ; encoding: [0x05,0x00,0x45,0xd6,0xfa,0x04,0x0e,0x04,0x01,0x6f,0x01,0xff]

v_xad_u32_e64_dpp v5, v1, v2, v3 quad_perm:[3,2,1,0] fi:0
// GFX11: v_xad_u32_e64_dpp v5, v1, v2, v3 quad_perm:[3,2,1,0] row_mask:0xf bank_mask:0xf ; encoding: [0x05,0x00,0x45,0xd6,0xfa,0x04,0x0e,0x04,0x01,0x1b,0x00,0xff]

v_xad_u32_e64_dpp v5, v1, v2, v3 quad_perm:[3,2,1,0] fi:1
// GFX11: v_xad_u32_e64_dpp v5, v1, v2, v3 quad_perm:[3,2,1,0] row_mask:0xf bank_mask:0xf fi:1 ; encoding: [0x05,0x00,0x45,0xd6,0xfa,0x04,0x0e,0x04,0x01,0x1b,0x04,0xff]

v_xad_u32_e64_dpp v5, v1, v2, v3 quad_perm:[3,2,1,0] row_mask:0x0 bank_mask:0x1
// GFX11: v_xad_u32_e64_dpp v5, v1, v2, v3 quad_perm:[3,2,1,0] row_mask:0x0 bank_mask:0x1 ; encoding: [0x05,0x00,0x45,0xd6,0xfa,0x04,0x0e,0x04,0x01,0x1b,0x00,0x01]

v_xad_u32_e64_dpp v5, v1, v2, v3 quad_perm:[3,2,1,0] row_mask:0x3 bank_mask:0x0
// GFX11: v_xad_u32_e64_dpp v5, v1, v2, v3 quad_perm:[3,2,1,0] row_mask:0x3 bank_mask:0x0 ; encoding: [0x05,0x00,0x45,0xd6,0xfa,0x04,0x0e,0x04,0x01,0x1b,0x00,0x30]
	;; [unrolled: 3-line block ×3, first 2 shown]

v_xor3_b32_e64_dpp v5, v1, v2, v3 quad_perm:[3,2,1,0]
// GFX11: v_xor3_b32_e64_dpp v5, v1, v2, v3 quad_perm:[3,2,1,0] row_mask:0xf bank_mask:0xf ; encoding: [0x05,0x00,0x40,0xd6,0xfa,0x04,0x0e,0x04,0x01,0x1b,0x00,0xff]

v_xor3_b32_e64_dpp v255, v255, v255, v255 quad_perm:[3,2,1,0]
// GFX11: v_xor3_b32_e64_dpp v255, v255, v255, v255 quad_perm:[3,2,1,0] row_mask:0xf bank_mask:0xf ; encoding: [0xff,0x00,0x40,0xd6,0xfa,0xfe,0xff,0x07,0xff,0x1b,0x00,0xff]

v_xor3_b32_e64_dpp v5, v1, v2, -1 quad_perm:[3,2,1,0]
// GFX11: v_xor3_b32_e64_dpp v5, v1, v2, -1 quad_perm:[3,2,1,0] row_mask:0xf bank_mask:0xf ; encoding: [0x05,0x00,0x40,0xd6,0xfa,0x04,0x06,0x03,0x01,0x1b,0x00,0xff]

v_xor3_b32_e64_dpp v5, v1, v2, 0.5 quad_perm:[3,2,1,0]
// GFX11: v_xor3_b32_e64_dpp v5, v1, v2, 0.5 quad_perm:[3,2,1,0] row_mask:0xf bank_mask:0xf ; encoding: [0x05,0x00,0x40,0xd6,0xfa,0x04,0xc2,0x03,0x01,0x1b,0x00,0xff]

v_xor3_b32_e64_dpp v5, v1, v2, exec_hi quad_perm:[3,2,1,0]
// GFX11: v_xor3_b32_e64_dpp v5, v1, v2, exec_hi quad_perm:[3,2,1,0] row_mask:0xf bank_mask:0xf ; encoding: [0x05,0x00,0x40,0xd6,0xfa,0x04,0xfe,0x01,0x01,0x1b,0x00,0xff]

v_xor3_b32_e64_dpp v5, v1, v2, exec_lo quad_perm:[3,2,1,0]
// GFX11: v_xor3_b32_e64_dpp v5, v1, v2, exec_lo quad_perm:[3,2,1,0] row_mask:0xf bank_mask:0xf ; encoding: [0x05,0x00,0x40,0xd6,0xfa,0x04,0xfa,0x01,0x01,0x1b,0x00,0xff]

v_xor3_b32_e64_dpp v5, v1, v2, m0 quad_perm:[3,2,1,0]
// GFX11: v_xor3_b32_e64_dpp v5, v1, v2, m0 quad_perm:[3,2,1,0] row_mask:0xf bank_mask:0xf ; encoding: [0x05,0x00,0x40,0xd6,0xfa,0x04,0xf6,0x01,0x01,0x1b,0x00,0xff]

v_xor3_b32_e64_dpp v5, v1, v2, null quad_perm:[3,2,1,0]
// GFX11: v_xor3_b32_e64_dpp v5, v1, v2, null quad_perm:[3,2,1,0] row_mask:0xf bank_mask:0xf ; encoding: [0x05,0x00,0x40,0xd6,0xfa,0x04,0xf2,0x01,0x01,0x1b,0x00,0xff]

v_xor3_b32_e64_dpp v5, v1, v2, s105 quad_perm:[3,2,1,0]
// GFX11: v_xor3_b32_e64_dpp v5, v1, v2, s105 quad_perm:[3,2,1,0] row_mask:0xf bank_mask:0xf ; encoding: [0x05,0x00,0x40,0xd6,0xfa,0x04,0xa6,0x01,0x01,0x1b,0x00,0xff]

v_xor3_b32_e64_dpp v5, v1, v2, s3 quad_perm:[3,2,1,0]
// GFX11: v_xor3_b32_e64_dpp v5, v1, v2, s3 quad_perm:[3,2,1,0] row_mask:0xf bank_mask:0xf ; encoding: [0x05,0x00,0x40,0xd6,0xfa,0x04,0x0e,0x00,0x01,0x1b,0x00,0xff]

v_xor3_b32_e64_dpp v5, v1, v2, src_scc quad_perm:[3,2,1,0]
// GFX11: v_xor3_b32_e64_dpp v5, v1, v2, src_scc quad_perm:[3,2,1,0] row_mask:0xf bank_mask:0xf ; encoding: [0x05,0x00,0x40,0xd6,0xfa,0x04,0xf6,0x03,0x01,0x1b,0x00,0xff]

v_xor3_b32_e64_dpp v5, v1, v2, ttmp15 quad_perm:[3,2,1,0]
// GFX11: v_xor3_b32_e64_dpp v5, v1, v2, ttmp15 quad_perm:[3,2,1,0] row_mask:0xf bank_mask:0xf ; encoding: [0x05,0x00,0x40,0xd6,0xfa,0x04,0xee,0x01,0x01,0x1b,0x00,0xff]

v_xor3_b32_e64_dpp v5, v1, v2, v255 quad_perm:[3,2,1,0]
// GFX11: v_xor3_b32_e64_dpp v5, v1, v2, v255 quad_perm:[3,2,1,0] row_mask:0xf bank_mask:0xf ; encoding: [0x05,0x00,0x40,0xd6,0xfa,0x04,0xfe,0x07,0x01,0x1b,0x00,0xff]

v_xor3_b32_e64_dpp v5, v1, v2, vcc_hi quad_perm:[3,2,1,0]
// GFX11: v_xor3_b32_e64_dpp v5, v1, v2, vcc_hi quad_perm:[3,2,1,0] row_mask:0xf bank_mask:0xf ; encoding: [0x05,0x00,0x40,0xd6,0xfa,0x04,0xae,0x01,0x01,0x1b,0x00,0xff]

v_xor3_b32_e64_dpp v5, v1, v2, vcc_lo quad_perm:[3,2,1,0]
// GFX11: v_xor3_b32_e64_dpp v5, v1, v2, vcc_lo quad_perm:[3,2,1,0] row_mask:0xf bank_mask:0xf ; encoding: [0x05,0x00,0x40,0xd6,0xfa,0x04,0xaa,0x01,0x01,0x1b,0x00,0xff]

v_xor3_b32_e64_dpp v5, v1, v2, v3 quad_perm:[3,2,1,0] bound_ctrl:0
// GFX11: v_xor3_b32_e64_dpp v5, v1, v2, v3 quad_perm:[3,2,1,0] row_mask:0xf bank_mask:0xf ; encoding: [0x05,0x00,0x40,0xd6,0xfa,0x04,0x0e,0x04,0x01,0x1b,0x00,0xff]

v_xor3_b32_e64_dpp v5, v1, v2, v3 quad_perm:[3,2,1,0] bound_ctrl:1
// GFX11: v_xor3_b32_e64_dpp v5, v1, v2, v3 quad_perm:[3,2,1,0] row_mask:0xf bank_mask:0xf bound_ctrl:1 ; encoding: [0x05,0x00,0x40,0xd6,0xfa,0x04,0x0e,0x04,0x01,0x1b,0x08,0xff]

v_xor3_b32_e64_dpp v5, v1, v2, v3 quad_perm:[0,1,2,3]
// GFX11: v_xor3_b32_e64_dpp v5, v1, v2, v3 quad_perm:[0,1,2,3] row_mask:0xf bank_mask:0xf ; encoding: [0x05,0x00,0x40,0xd6,0xfa,0x04,0x0e,0x04,0x01,0xe4,0x00,0xff]

v_xor3_b32_e64_dpp v5, v1, v2, v3 row_half_mirror
// GFX11: v_xor3_b32_e64_dpp v5, v1, v2, v3 row_half_mirror row_mask:0xf bank_mask:0xf ; encoding: [0x05,0x00,0x40,0xd6,0xfa,0x04,0x0e,0x04,0x01,0x41,0x01,0xff]

v_xor3_b32_e64_dpp v5, v1, v2, v3 row_mirror
// GFX11: v_xor3_b32_e64_dpp v5, v1, v2, v3 row_mirror row_mask:0xf bank_mask:0xf ; encoding: [0x05,0x00,0x40,0xd6,0xfa,0x04,0x0e,0x04,0x01,0x40,0x01,0xff]

v_xor3_b32_e64_dpp v5, v1, v2, v3 row_ror:1
// GFX11: v_xor3_b32_e64_dpp v5, v1, v2, v3 row_ror:1 row_mask:0xf bank_mask:0xf ; encoding: [0x05,0x00,0x40,0xd6,0xfa,0x04,0x0e,0x04,0x01,0x21,0x01,0xff]

v_xor3_b32_e64_dpp v5, v1, v2, v3 row_ror:15
// GFX11: v_xor3_b32_e64_dpp v5, v1, v2, v3 row_ror:15 row_mask:0xf bank_mask:0xf ; encoding: [0x05,0x00,0x40,0xd6,0xfa,0x04,0x0e,0x04,0x01,0x2f,0x01,0xff]

v_xor3_b32_e64_dpp v5, v1, v2, v3 row_share:0
// GFX11: v_xor3_b32_e64_dpp v5, v1, v2, v3 row_share:0 row_mask:0xf bank_mask:0xf ; encoding: [0x05,0x00,0x40,0xd6,0xfa,0x04,0x0e,0x04,0x01,0x50,0x01,0xff]

v_xor3_b32_e64_dpp v5, v1, v2, v3 row_share:15
// GFX11: v_xor3_b32_e64_dpp v5, v1, v2, v3 row_share:15 row_mask:0xf bank_mask:0xf ; encoding: [0x05,0x00,0x40,0xd6,0xfa,0x04,0x0e,0x04,0x01,0x5f,0x01,0xff]

v_xor3_b32_e64_dpp v5, v1, v2, v3 row_shl:1
// GFX11: v_xor3_b32_e64_dpp v5, v1, v2, v3 row_shl:1 row_mask:0xf bank_mask:0xf ; encoding: [0x05,0x00,0x40,0xd6,0xfa,0x04,0x0e,0x04,0x01,0x01,0x01,0xff]

v_xor3_b32_e64_dpp v5, v1, v2, v3 row_shl:15
// GFX11: v_xor3_b32_e64_dpp v5, v1, v2, v3 row_shl:15 row_mask:0xf bank_mask:0xf ; encoding: [0x05,0x00,0x40,0xd6,0xfa,0x04,0x0e,0x04,0x01,0x0f,0x01,0xff]

v_xor3_b32_e64_dpp v5, v1, v2, v3 row_shr:1
// GFX11: v_xor3_b32_e64_dpp v5, v1, v2, v3 row_shr:1 row_mask:0xf bank_mask:0xf ; encoding: [0x05,0x00,0x40,0xd6,0xfa,0x04,0x0e,0x04,0x01,0x11,0x01,0xff]

v_xor3_b32_e64_dpp v5, v1, v2, v3 row_shr:15
// GFX11: v_xor3_b32_e64_dpp v5, v1, v2, v3 row_shr:15 row_mask:0xf bank_mask:0xf ; encoding: [0x05,0x00,0x40,0xd6,0xfa,0x04,0x0e,0x04,0x01,0x1f,0x01,0xff]

v_xor3_b32_e64_dpp v5, v1, v2, v3 row_xmask:0
// GFX11: v_xor3_b32_e64_dpp v5, v1, v2, v3 row_xmask:0 row_mask:0xf bank_mask:0xf ; encoding: [0x05,0x00,0x40,0xd6,0xfa,0x04,0x0e,0x04,0x01,0x60,0x01,0xff]

v_xor3_b32_e64_dpp v5, v1, v2, v3 row_xmask:15
// GFX11: v_xor3_b32_e64_dpp v5, v1, v2, v3 row_xmask:15 row_mask:0xf bank_mask:0xf ; encoding: [0x05,0x00,0x40,0xd6,0xfa,0x04,0x0e,0x04,0x01,0x6f,0x01,0xff]

v_xor3_b32_e64_dpp v5, v1, v2, v3 quad_perm:[3,2,1,0] fi:0
// GFX11: v_xor3_b32_e64_dpp v5, v1, v2, v3 quad_perm:[3,2,1,0] row_mask:0xf bank_mask:0xf ; encoding: [0x05,0x00,0x40,0xd6,0xfa,0x04,0x0e,0x04,0x01,0x1b,0x00,0xff]

v_xor3_b32_e64_dpp v5, v1, v2, v3 quad_perm:[3,2,1,0] fi:1
// GFX11: v_xor3_b32_e64_dpp v5, v1, v2, v3 quad_perm:[3,2,1,0] row_mask:0xf bank_mask:0xf fi:1 ; encoding: [0x05,0x00,0x40,0xd6,0xfa,0x04,0x0e,0x04,0x01,0x1b,0x04,0xff]

v_xor3_b32_e64_dpp v5, v1, v2, v3 quad_perm:[3,2,1,0] row_mask:0x0 bank_mask:0x1
// GFX11: v_xor3_b32_e64_dpp v5, v1, v2, v3 quad_perm:[3,2,1,0] row_mask:0x0 bank_mask:0x1 ; encoding: [0x05,0x00,0x40,0xd6,0xfa,0x04,0x0e,0x04,0x01,0x1b,0x00,0x01]

v_xor3_b32_e64_dpp v5, v1, v2, v3 quad_perm:[3,2,1,0] row_mask:0x3 bank_mask:0x0
// GFX11: v_xor3_b32_e64_dpp v5, v1, v2, v3 quad_perm:[3,2,1,0] row_mask:0x3 bank_mask:0x0 ; encoding: [0x05,0x00,0x40,0xd6,0xfa,0x04,0x0e,0x04,0x01,0x1b,0x00,0x30]
	;; [unrolled: 3-line block ×3, first 2 shown]

v_xor_b16_e64_dpp v5.l, v1.l, v2.l quad_perm:[3,2,1,0]
// GFX11: v_xor_b16_e64_dpp v5.l, v1.l, v2.l quad_perm:[3,2,1,0] row_mask:0xf bank_mask:0xf ; encoding: [0x05,0x00,0x64,0xd7,0xfa,0x04,0x02,0x00,0x01,0x1b,0x00,0xff]

v_xor_b16_e64_dpp v255.l, v255.l, v255.l quad_perm:[3,2,1,0]
// GFX11: v_xor_b16_e64_dpp v255.l, v255.l, v255.l quad_perm:[3,2,1,0] row_mask:0xf bank_mask:0xf ; encoding: [0xff,0x00,0x64,0xd7,0xfa,0xfe,0x03,0x00,0xff,0x1b,0x00,0xff]

v_xor_b16_e64_dpp v5.l, v1.h, v2.l op_sel:[1,0,0] quad_perm:[3,2,1,0]
// GFX11: v_xor_b16_e64_dpp v5.l, v1.h, v2.l op_sel:[1,0,0] quad_perm:[3,2,1,0] row_mask:0xf bank_mask:0xf ; encoding: [0x05,0x08,0x64,0xd7,0xfa,0x04,0x02,0x00,0x01,0x1b,0x00,0xff]

v_xor_b16_e64_dpp v5.l, v1.l, v2.h op_sel:[0,1,0] quad_perm:[3,2,1,0]
// GFX11: v_xor_b16_e64_dpp v5.l, v1.l, v2.h op_sel:[0,1,0] quad_perm:[3,2,1,0] row_mask:0xf bank_mask:0xf ; encoding: [0x05,0x10,0x64,0xd7,0xfa,0x04,0x02,0x00,0x01,0x1b,0x00,0xff]

v_xor_b16_e64_dpp v5.l, v1.l, v2.l quad_perm:[3,2,1,0] bound_ctrl:0
// GFX11: v_xor_b16_e64_dpp v5.l, v1.l, v2.l quad_perm:[3,2,1,0] row_mask:0xf bank_mask:0xf ; encoding: [0x05,0x00,0x64,0xd7,0xfa,0x04,0x02,0x00,0x01,0x1b,0x00,0xff]

v_xor_b16_e64_dpp v5.l, v1.l, v2.l quad_perm:[3,2,1,0] bound_ctrl:1
// GFX11: v_xor_b16_e64_dpp v5.l, v1.l, v2.l quad_perm:[3,2,1,0] row_mask:0xf bank_mask:0xf bound_ctrl:1 ; encoding: [0x05,0x00,0x64,0xd7,0xfa,0x04,0x02,0x00,0x01,0x1b,0x08,0xff]

v_xor_b16_e64_dpp v5.l, v1.l, v2.l quad_perm:[0,1,2,3]
// GFX11: v_xor_b16_e64_dpp v5.l, v1.l, v2.l quad_perm:[0,1,2,3] row_mask:0xf bank_mask:0xf ; encoding: [0x05,0x00,0x64,0xd7,0xfa,0x04,0x02,0x00,0x01,0xe4,0x00,0xff]

v_xor_b16_e64_dpp v5.l, v1.l, v2.l row_half_mirror
// GFX11: v_xor_b16_e64_dpp v5.l, v1.l, v2.l row_half_mirror row_mask:0xf bank_mask:0xf ; encoding: [0x05,0x00,0x64,0xd7,0xfa,0x04,0x02,0x00,0x01,0x41,0x01,0xff]

v_xor_b16_e64_dpp v5.l, v1.l, v2.l row_mirror
// GFX11: v_xor_b16_e64_dpp v5.l, v1.l, v2.l row_mirror row_mask:0xf bank_mask:0xf ; encoding: [0x05,0x00,0x64,0xd7,0xfa,0x04,0x02,0x00,0x01,0x40,0x01,0xff]

v_xor_b16_e64_dpp v5.l, v1.l, v2.l row_ror:1
// GFX11: v_xor_b16_e64_dpp v5.l, v1.l, v2.l row_ror:1 row_mask:0xf bank_mask:0xf ; encoding: [0x05,0x00,0x64,0xd7,0xfa,0x04,0x02,0x00,0x01,0x21,0x01,0xff]

v_xor_b16_e64_dpp v5.l, v1.l, v2.l row_ror:15
// GFX11: v_xor_b16_e64_dpp v5.l, v1.l, v2.l row_ror:15 row_mask:0xf bank_mask:0xf ; encoding: [0x05,0x00,0x64,0xd7,0xfa,0x04,0x02,0x00,0x01,0x2f,0x01,0xff]

v_xor_b16_e64_dpp v5.l, v1.l, v2.l row_share:0
// GFX11: v_xor_b16_e64_dpp v5.l, v1.l, v2.l row_share:0 row_mask:0xf bank_mask:0xf ; encoding: [0x05,0x00,0x64,0xd7,0xfa,0x04,0x02,0x00,0x01,0x50,0x01,0xff]

v_xor_b16_e64_dpp v5.l, v1.l, v2.l row_share:15
// GFX11: v_xor_b16_e64_dpp v5.l, v1.l, v2.l row_share:15 row_mask:0xf bank_mask:0xf ; encoding: [0x05,0x00,0x64,0xd7,0xfa,0x04,0x02,0x00,0x01,0x5f,0x01,0xff]

v_xor_b16_e64_dpp v5.l, v1.l, v2.l row_shl:1
// GFX11: v_xor_b16_e64_dpp v5.l, v1.l, v2.l row_shl:1 row_mask:0xf bank_mask:0xf ; encoding: [0x05,0x00,0x64,0xd7,0xfa,0x04,0x02,0x00,0x01,0x01,0x01,0xff]

v_xor_b16_e64_dpp v5.l, v1.l, v2.l row_shl:15
// GFX11: v_xor_b16_e64_dpp v5.l, v1.l, v2.l row_shl:15 row_mask:0xf bank_mask:0xf ; encoding: [0x05,0x00,0x64,0xd7,0xfa,0x04,0x02,0x00,0x01,0x0f,0x01,0xff]

v_xor_b16_e64_dpp v5.l, v1.l, v2.l row_shr:1
// GFX11: v_xor_b16_e64_dpp v5.l, v1.l, v2.l row_shr:1 row_mask:0xf bank_mask:0xf ; encoding: [0x05,0x00,0x64,0xd7,0xfa,0x04,0x02,0x00,0x01,0x11,0x01,0xff]

v_xor_b16_e64_dpp v5.l, v1.l, v2.l row_shr:15
// GFX11: v_xor_b16_e64_dpp v5.l, v1.l, v2.l row_shr:15 row_mask:0xf bank_mask:0xf ; encoding: [0x05,0x00,0x64,0xd7,0xfa,0x04,0x02,0x00,0x01,0x1f,0x01,0xff]

v_xor_b16_e64_dpp v5.l, v1.l, v2.l row_xmask:0
// GFX11: v_xor_b16_e64_dpp v5.l, v1.l, v2.l row_xmask:0 row_mask:0xf bank_mask:0xf ; encoding: [0x05,0x00,0x64,0xd7,0xfa,0x04,0x02,0x00,0x01,0x60,0x01,0xff]

v_xor_b16_e64_dpp v5.l, v1.l, v2.l row_xmask:15
// GFX11: v_xor_b16_e64_dpp v5.l, v1.l, v2.l row_xmask:15 row_mask:0xf bank_mask:0xf ; encoding: [0x05,0x00,0x64,0xd7,0xfa,0x04,0x02,0x00,0x01,0x6f,0x01,0xff]

v_xor_b16_e64_dpp v5.l, v1.l, v2.l quad_perm:[3,2,1,0] fi:0
// GFX11: v_xor_b16_e64_dpp v5.l, v1.l, v2.l quad_perm:[3,2,1,0] row_mask:0xf bank_mask:0xf ; encoding: [0x05,0x00,0x64,0xd7,0xfa,0x04,0x02,0x00,0x01,0x1b,0x00,0xff]

v_xor_b16_e64_dpp v5.l, v1.l, v2.l quad_perm:[3,2,1,0] fi:1
// GFX11: v_xor_b16_e64_dpp v5.l, v1.l, v2.l quad_perm:[3,2,1,0] row_mask:0xf bank_mask:0xf fi:1 ; encoding: [0x05,0x00,0x64,0xd7,0xfa,0x04,0x02,0x00,0x01,0x1b,0x04,0xff]

v_xor_b16_e64_dpp v5.l, v1.l, v2.l quad_perm:[3,2,1,0] row_mask:0x0 bank_mask:0x1
// GFX11: v_xor_b16_e64_dpp v5.l, v1.l, v2.l quad_perm:[3,2,1,0] row_mask:0x0 bank_mask:0x1 ; encoding: [0x05,0x00,0x64,0xd7,0xfa,0x04,0x02,0x00,0x01,0x1b,0x00,0x01]

v_xor_b16_e64_dpp v5.l, v1.l, v2.l quad_perm:[3,2,1,0] row_mask:0x3 bank_mask:0x0
// GFX11: v_xor_b16_e64_dpp v5.l, v1.l, v2.l quad_perm:[3,2,1,0] row_mask:0x3 bank_mask:0x0 ; encoding: [0x05,0x00,0x64,0xd7,0xfa,0x04,0x02,0x00,0x01,0x1b,0x00,0x30]
	;; [unrolled: 3-line block ×3, first 2 shown]
